;; amdgpu-corpus repo=ROCm/aiter kind=harvested arch=n/a opt=n/a

/root/src/amdgpu-assembly/repos/ROCm__aiter/hsa/gfx942/i8gemm/I8gemm_bf16_perTokenI8_BpreShuffle_96x128.co:	file format elf64-amdgpu

Disassembly of section .text:

0000000000002000 <_ZN5aiter41I8gemm_bf16_perTokenI8_BpreShuffle_96x128E>:
	s_and_b32 s1, s1, 0xffff                                   // 000000002000: 8601FF01 0000FFFF
	s_load_dwordx2 s[16:17], s[0:1], 0x0                       // 000000002008: C0060400 00000000
	s_load_dwordx2 s[4:5], s[0:1], 0x10                        // 000000002010: C0060100 00000010
	s_load_dwordx2 s[8:9], s[0:1], 0x20                        // 000000002018: C0060200 00000020
	s_load_dwordx2 s[20:21], s[0:1], 0x30                      // 000000002020: C0060500 00000030
	s_load_dwordx2 s[24:25], s[0:1], 0x40                      // 000000002028: C0060600 00000040
	s_load_dwordx2 s[28:29], s[0:1], 0x50                      // 000000002030: C0060700 00000050
	s_load_dword s32, s[0:1], 0x60                             // 000000002038: C0020800 00000060
	s_load_dword s33, s[0:1], 0x70                             // 000000002040: C0020840 00000070
	s_load_dword s34, s[0:1], 0x80                             // 000000002048: C0020880 00000080
	s_load_dword s35, s[0:1], 0x90                             // 000000002050: C00208C0 00000090
	s_load_dword s36, s[0:1], 0xa0                             // 000000002058: C0020900 000000A0
	s_load_dword s37, s[0:1], 0xb0                             // 000000002060: C0020940 000000B0
	s_load_dword s38, s[0:1], 0xc0                             // 000000002068: C0020980 000000C0
	v_lshrrev_b32_e32 v1, 10, v0                               // 000000002070: 2002008A
	v_lshrrev_b32_e32 v2, 10, v1                               // 000000002074: 2004028A
	v_and_b32_e32 v2, 0x3ff, v2                                // 000000002078: 260404FF 000003FF
	v_and_b32_e32 v1, 0x3ff, v1                                // 000000002080: 260202FF 000003FF
	v_and_b32_e32 v0, 0x3ff, v0                                // 000000002088: 260000FF 000003FF
	v_lshrrev_b32_e32 v3, 6, v0                                // 000000002090: 20060086
	v_and_b32_e32 v0, 63, v0                                   // 000000002094: 260000BF
	s_mov_b32 s41, s2                                          // 000000002098: BEA90002
	s_mov_b32 s42, s3                                          // 00000000209C: BEAA0003
	s_waitcnt lgkmcnt(0)                                       // 0000000020A0: BF8CC07F
	v_readfirstlane_b32 s44, v3                                // 0000000020A4: 7E580503
	s_mov_b32 s6, 0x80000000                                   // 0000000020A8: BE8600FF 80000000
	s_mov_b32 s10, 0x80000000                                  // 0000000020B0: BE8A00FF 80000000
	s_mov_b32 s22, 0x80000000                                  // 0000000020B8: BE9600FF 80000000
	s_mov_b32 s26, 0x80000000                                  // 0000000020C0: BE9A00FF 80000000
	s_mov_b32 s30, 0x80000000                                  // 0000000020C8: BE9E00FF 80000000
	s_mov_b32 s7, 0x20000                                      // 0000000020D0: BE8700FF 00020000
	s_mov_b32 s11, 0x20000                                     // 0000000020D8: BE8B00FF 00020000
	s_mov_b32 s23, 0x20000                                     // 0000000020E0: BE9700FF 00020000
	s_mov_b32 s27, 0x20000                                     // 0000000020E8: BE9B00FF 00020000
	s_mov_b32 s31, 0x20000                                     // 0000000020F0: BE9F00FF 00020000
	s_and_b32 s5, s5, 0xffff                                   // 0000000020F8: 8605FF05 0000FFFF
	s_and_b32 s9, s9, 0xffff                                   // 000000002100: 8609FF09 0000FFFF
	s_and_b32 s21, s21, 0xffff                                 // 000000002108: 8615FF15 0000FFFF
	s_and_b32 s25, s25, 0xffff                                 // 000000002110: 8619FF19 0000FFFF
	s_and_b32 s29, s29, 0xffff                                 // 000000002118: 861DFF1D 0000FFFF
	s_or_b32 s5, s5, 0x40000                                   // 000000002120: 8705FF05 00040000
	s_or_b32 s9, s9, 0x40000                                   // 000000002128: 8709FF09 00040000
	s_or_b32 s21, s21, 0x40000                                 // 000000002130: 8715FF15 00040000
	s_or_b32 s25, s25, 0x40000                                 // 000000002138: 8719FF19 00040000
	s_or_b32 s29, s29, 0x40000                                 // 000000002140: 871DFF1D 00040000
	s_mov_b32 s56, s41                                         // 000000002148: BEB80029
	s_mov_b32 s57, s38                                         // 00000000214C: BEB90026
	v_cvt_f32_u32_e32 v4, s57                                  // 000000002150: 7E080C39
	s_sub_i32 s47, 0, s57                                      // 000000002154: 81AF3980
	v_rcp_iflag_f32_e32 v4, v4                                 // 000000002158: 7E084704
	s_nop 0                                                    // 00000000215C: BF800000
	v_mul_f32_e32 v4, 0x4f7ffffe, v4                           // 000000002160: 0A0808FF 4F7FFFFE
	v_cvt_u32_f32_e32 v4, v4                                   // 000000002168: 7E080F04
	v_mul_lo_u32 v5, s47, v4                                   // 00000000216C: D2850005 0002082F
	v_mul_hi_u32 v5, v4, v5                                    // 000000002174: D2860005 00020B04
	v_add_u32_e32 v4, v4, v5                                   // 00000000217C: 68080B04
	v_mul_hi_u32 v4, s56, v4                                   // 000000002180: D2860004 00020838
	v_mul_lo_u32 v5, v4, s57                                   // 000000002188: D2850005 00007304
	v_sub_u32_e32 v7, s56, v5                                  // 000000002190: 6A0E0A38
	v_add_u32_e32 v6, 1, v4                                    // 000000002194: 680C0881
	v_cmp_le_u32_e32 vcc, s57, v7                              // 000000002198: 7D960E39
	v_subrev_u32_e32 v5, s57, v7                               // 00000000219C: 6C0A0E39
	s_nop 0                                                    // 0000000021A0: BF800000
	v_cndmask_b32_e32 v4, v4, v6, vcc                          // 0000000021A4: 00080D04
	v_cndmask_b32_e32 v7, v7, v5, vcc                          // 0000000021A8: 000E0B07
	v_add_u32_e32 v5, 1, v4                                    // 0000000021AC: 680A0881
	v_cmp_le_u32_e32 vcc, s57, v7                              // 0000000021B0: 7D960E39
	s_nop 1                                                    // 0000000021B4: BF800001
	v_cndmask_b32_e32 v7, v4, v5, vcc                          // 0000000021B8: 000E0B04
	s_nop 3                                                    // 0000000021BC: BF800003
	v_readfirstlane_b32 s58, v7                                // 0000000021C0: 7E740507
	s_nop 3                                                    // 0000000021C4: BF800003
	s_mov_b32 s41, s58                                         // 0000000021C8: BEA9003A
	s_mul_i32 s47, s41, s38                                    // 0000000021CC: 922F2629
	s_sub_u32 s75, s56, s47                                    // 0000000021D0: 80CB2F38
	s_mov_b32 s56, s34                                         // 0000000021D4: BEB80022
	s_mov_b32 s57, s38                                         // 0000000021D8: BEB90026
	v_cvt_f32_u32_e32 v4, s57                                  // 0000000021DC: 7E080C39
	s_sub_i32 s47, 0, s57                                      // 0000000021E0: 81AF3980
	v_rcp_iflag_f32_e32 v4, v4                                 // 0000000021E4: 7E084704
	s_nop 0                                                    // 0000000021E8: BF800000
	v_mul_f32_e32 v4, 0x4f7ffffe, v4                           // 0000000021EC: 0A0808FF 4F7FFFFE
	v_cvt_u32_f32_e32 v4, v4                                   // 0000000021F4: 7E080F04
	v_mul_lo_u32 v5, s47, v4                                   // 0000000021F8: D2850005 0002082F
	v_mul_hi_u32 v5, v4, v5                                    // 000000002200: D2860005 00020B04
	v_add_u32_e32 v4, v4, v5                                   // 000000002208: 68080B04
	v_mul_hi_u32 v4, s56, v4                                   // 00000000220C: D2860004 00020838
	v_mul_lo_u32 v5, v4, s57                                   // 000000002214: D2850005 00007304
	v_sub_u32_e32 v7, s56, v5                                  // 00000000221C: 6A0E0A38
	v_add_u32_e32 v6, 1, v4                                    // 000000002220: 680C0881
	v_cmp_le_u32_e32 vcc, s57, v7                              // 000000002224: 7D960E39
	v_subrev_u32_e32 v5, s57, v7                               // 000000002228: 6C0A0E39
	s_nop 0                                                    // 00000000222C: BF800000
	v_cndmask_b32_e32 v4, v4, v6, vcc                          // 000000002230: 00080D04
	v_cndmask_b32_e32 v7, v7, v5, vcc                          // 000000002234: 000E0B07
	v_add_u32_e32 v5, 1, v4                                    // 000000002238: 680A0881
	v_cmp_le_u32_e32 vcc, s57, v7                              // 00000000223C: 7D960E39
	s_nop 1                                                    // 000000002240: BF800001
	v_cndmask_b32_e32 v7, v4, v5, vcc                          // 000000002244: 000E0B04
	s_nop 3                                                    // 000000002248: BF800003
	v_readfirstlane_b32 s58, v7                                // 00000000224C: 7E740507
	s_nop 3                                                    // 000000002250: BF800003
	s_add_u32 s58, 0x7f, s58                                   // 000000002254: 803A3AFF 0000007F
	s_lshr_b32 s58, s58, 7                                     // 00000000225C: 8F3A873A
	s_lshl_b32 s76, s58, 7                                     // 000000002260: 8E4C873A
	s_mul_i32 s48, s76, s75                                    // 000000002264: 92304B4C
	s_sub_i32 s47, s34, s48                                    // 000000002268: 81AF3022
	s_cmp_lt_i32 s47, s76                                      // 00000000226C: BF044C2F
	s_cselect_b32 s34, s47, s76                                // 000000002270: 85224C2F
	s_mul_i32 s47, s42, 0x60                                   // 000000002274: 922FFF2A 00000060
	s_mul_i32 s48, s47, s37                                    // 00000000227C: 9230252F
	s_mul_hi_u32 s49, s47, s37                                 // 000000002280: 9631252F
	s_add_u32 s16, s16, s48                                    // 000000002284: 80103010
	s_addc_u32 s17, s17, s49                                   // 000000002288: 82113111
	s_mul_i32 s47, s41, 0x80                                   // 00000000228C: 922FFF29 00000080
	s_mul_i32 s48, s47, 2                                      // 000000002294: 9230822F
	s_mul_hi_u32 s49, s47, 2                                   // 000000002298: 9631822F
	s_add_u32 s16, s16, s48                                    // 00000000229C: 80103010
	s_addc_u32 s17, s17, s49                                   // 0000000022A0: 82113111
	s_mov_b32 s80, s16                                         // 0000000022A4: BED00010
	s_mov_b32 s81, s17                                         // 0000000022A8: BED10011
	s_mul_i32 s47, s42, 0x60                                   // 0000000022AC: 922FFF2A 00000060
	s_sub_i32 s48, s32, s47                                    // 0000000022B4: 81B02F20
	s_cmp_lt_u32 s48, 0x60                                     // 0000000022B8: BF0AFF30 00000060
	s_cselect_b32 s47, s48, 0x60                               // 0000000022C0: 852FFF30 00000060
	s_mul_i32 s48, s47, s37                                    // 0000000022C8: 9230252F
	s_mov_b32 s18, s48                                         // 0000000022CC: BE920030
	s_mov_b32 s82, 0x80000000                                  // 0000000022D0: BED200FF 80000000
	s_mov_b32 s19, 0x20000                                     // 0000000022D8: BE9300FF 00020000
	s_and_b32 s17, s17, 0xffff                                 // 0000000022E0: 8611FF11 0000FFFF
	s_and_b32 s81, s81, 0xffff                                 // 0000000022E8: 8651FF51 0000FFFF
	s_or_b32 s17, s17, 0x40000                                 // 0000000022F0: 8711FF11 00040000
	s_mov_b32 s45, 0x7060302                                   // 0000000022F8: BEAD00FF 07060302
	v_mov_b32_e32 v13, 0xffff0000                              // 000000002300: 7E1A02FF FFFF0000
	v_mov_b32_e32 v14, 0x7fff0000                              // 000000002308: 7E1C02FF 7FFF0000
	v_mov_b32_e32 v15, 0x7fff                                  // 000000002310: 7E1E02FF 00007FFF
	s_mul_i32 s47, 0x80, s41                                   // 000000002318: 922F29FF 00000080
	s_mul_hi_u32 s48, 4, s47                                   // 000000002320: 96302F84
	s_add_u32 s29, s29, s48                                    // 000000002324: 801D301D
	s_mul_i32 s48, 4, s47                                      // 000000002328: 92302F84
	s_add_u32 s28, s28, s48                                    // 00000000232C: 801C301C
	s_addc_u32 s29, s29, 0                                     // 000000002330: 821D801D
	s_sub_i32 s48, s33, s47                                    // 000000002334: 81B02F21
	s_cmp_lt_u32 s48, 0x80                                     // 000000002338: BF0AFF30 00000080
	s_cselect_b32 s47, s48, 0x80                               // 000000002340: 852FFF30 00000080
	s_mul_i32 s48, 4, s47                                      // 000000002348: 92302F84
	s_mov_b32 s30, s48                                         // 00000000234C: BE9E0030
	s_mov_b32 s31, 0x20000                                     // 000000002350: BE9F00FF 00020000
	v_lshrrev_b32_e32 v4, 4, v0                                // 000000002358: 20080084
	v_lshlrev_b32_e32 v4, 4, v4                                // 00000000235C: 24080884
	s_mul_i32 s49, s44, 0x80                                   // 000000002360: 9231FF2C 00000080
	v_add_u32_e64 v146, v4, s49                                // 000000002368: D1340092 00006304
	v_add_u32_e64 v147, v146, 64                               // 000000002370: D1340093 00018192
	buffer_load_dwordx4 v[148:151], v146, s[28:31], 0 offen    // 000000002378: E05C1000 80079492
	buffer_load_dwordx4 v[152:155], v147, s[28:31], 0 offen    // 000000002380: E05C1000 80079893
	s_mul_i32 s47, 0x60, s42                                   // 000000002388: 922F2AFF 00000060
	s_mul_hi_u32 s48, 4, s47                                   // 000000002390: 96302F84
	s_add_u32 s21, s21, s48                                    // 000000002394: 80153015
	s_mul_i32 s48, 4, s47                                      // 000000002398: 92302F84
	s_add_u32 s20, s20, s48                                    // 00000000239C: 80143014
	s_addc_u32 s21, s21, 0                                     // 0000000023A0: 82158015
	s_sub_i32 s48, s32, s47                                    // 0000000023A4: 81B02F20
	s_cmp_lt_u32 s48, 0x60                                     // 0000000023A8: BF0AFF30 00000060
	s_cselect_b32 s47, s48, 0x60                               // 0000000023B0: 852FFF30 00000060
	s_mul_i32 s48, 4, s47                                      // 0000000023B8: 92302F84
	s_mov_b32 s22, s48                                         // 0000000023BC: BE960030
	s_mov_b32 s23, 0x20000                                     // 0000000023C0: BE9700FF 00020000
	v_and_b32_e64 v142, v0, 15                                 // 0000000023C8: D113008E 00011F00
	v_lshlrev_b32_e32 v142, 2, v142                            // 0000000023D0: 251D1C82
	buffer_load_dword v122, v142, s[20:23], 0 offen            // 0000000023D4: E0501000 80057A8E
	buffer_load_dword v123, v142, s[20:23], 0 offen offset:64  // 0000000023DC: E0501040 80057B8E
	buffer_load_dword v124, v142, s[20:23], 0 offen offset:128 // 0000000023E4: E0501080 80057C8E
	buffer_load_dword v125, v142, s[20:23], 0 offen offset:192 // 0000000023EC: E05010C0 80057D8E
	buffer_load_dword v126, v142, s[20:23], 0 offen offset:256 // 0000000023F4: E0501100 80057E8E
	buffer_load_dword v127, v142, s[20:23], 0 offen offset:320 // 0000000023FC: E0501140 80057F8E
	s_mul_i32 s47, 0x80, s41                                   // 000000002404: 922F29FF 00000080
	s_mul_hi_u32 s48, 4, s47                                   // 00000000240C: 96302F84
	s_add_u32 s25, s25, s48                                    // 000000002410: 80193019
	s_mul_i32 s48, 4, s47                                      // 000000002414: 92302F84
	s_add_u32 s24, s24, s48                                    // 000000002418: 80183018
	s_addc_u32 s25, s25, 0                                     // 00000000241C: 82198019
	s_sub_i32 s48, s33, s47                                    // 000000002420: 81B02F21
	s_cmp_lt_u32 s48, 0x80                                     // 000000002424: BF0AFF30 00000080
	s_cselect_b32 s47, s48, 0x80                               // 00000000242C: 852FFF30 00000080
	s_mul_i32 s48, 4, s47                                      // 000000002434: 92302F84
	s_mov_b32 s26, s48                                         // 000000002438: BE9A0030
	s_mov_b32 s27, 0x20000                                     // 00000000243C: BE9B00FF 00020000
	v_lshrrev_b32_e32 v4, 4, v0                                // 000000002444: 20080084
	v_lshlrev_b32_e32 v4, 4, v4                                // 000000002448: 24080884
	s_mul_i32 s49, s44, 0x80                                   // 00000000244C: 9231FF2C 00000080
	v_add_u32_e64 v144, v4, s49                                // 000000002454: D1340090 00006304
	v_add_u32_e64 v145, v144, 64                               // 00000000245C: D1340091 00018190
	buffer_load_dwordx4 v[134:137], v144, s[24:27], 0 offen    // 000000002464: E05C1000 80068690
	buffer_load_dwordx4 v[138:141], v145, s[24:27], 0 offen    // 00000000246C: E05C1000 80068A91
	v_lshrrev_b32_e32 v4, 5, v0                                // 000000002474: 20080085
	v_lshlrev_b32_e32 v4, 2, v4                                // 000000002478: 24080882
	v_mul_i32_i24_e32 v4, s35, v4                              // 00000000247C: 0C080823
	v_and_b32_e32 v30, 31, v0                                  // 000000002480: 263C009F
	v_lshlrev_b32_e32 v30, 2, v30                              // 000000002484: 243C3C82
	s_mul_i32 s47, 0x60, s42                                   // 000000002488: 922F2AFF 00000060
	s_sub_i32 s48, s32, s47                                    // 000000002490: 81B02F20
	s_cmp_lt_u32 s48, 0x60                                     // 000000002494: BF0AFF30 00000060
	s_cselect_b32 s48, s48, 0x60                               // 00000000249C: 8530FF30 00000060
	s_mul_i32 s49, s35, s47                                    // 0000000024A4: 92312F23
	s_mul_hi_u32 s47, s35, s47                                 // 0000000024A8: 962F2F23
	s_add_u32 s4, s4, s49                                      // 0000000024AC: 80043104
	s_addc_u32 s5, s5, s47                                     // 0000000024B0: 82052F05
	s_mul_i32 s47, s35, s48                                    // 0000000024B4: 922F3023
	s_mov_b32 s6, s47                                          // 0000000024B8: BE86002F
	s_mov_b32 s7, 0x20000                                      // 0000000024BC: BE8700FF 00020000
	s_mul_i32 s48, s76, s75                                    // 0000000024C4: 92304B4C
	s_add_u32 s4, s48, s4                                      // 0000000024C8: 80040430
	s_addc_u32 s5, 0, s5                                       // 0000000024CC: 82050580
	s_sub_u32 s6, s6, s48                                      // 0000000024D0: 80863006
	s_mul_i32 s47, s35, s44                                    // 0000000024D4: 922F2C23
	v_add3_u32 v30, v4, v30, s47                               // 0000000024D8: D1FF001E 00BE3D04
	s_lshl_b32 s47, s35, 3                                     // 0000000024E0: 8E2F8323
	v_add_u32_e32 v31, s47, v30                                // 0000000024E4: 683E3C2F
	v_add_u32_e32 v32, s47, v31                                // 0000000024E8: 68403E2F
	v_add_u32_e32 v33, s47, v32                                // 0000000024EC: 6842402F
	v_add_u32_e32 v34, s47, v33                                // 0000000024F0: 6844422F
	v_add_u32_e32 v35, s47, v34                                // 0000000024F4: 6846442F
	v_add_u32_e32 v36, s47, v35                                // 0000000024F8: 6848462F
	v_add_u32_e32 v37, s47, v36                                // 0000000024FC: 684A482F
	v_add_u32_e32 v38, s47, v37                                // 000000002500: 684C4A2F
	v_add_u32_e32 v39, s47, v38                                // 000000002504: 684E4C2F
	v_add_u32_e32 v40, s47, v39                                // 000000002508: 68504E2F
	v_add_u32_e32 v41, s47, v40                                // 00000000250C: 6852502F
	s_mov_b32 s51, 0x80                                        // 000000002510: BEB300FF 00000080
	s_mov_b32 s47, 0x60                                        // 000000002518: BEAF00FF 00000060
	s_lshr_b32 s47, s47, 2                                     // 000000002520: 8F2F822F
	s_mul_i32 s47, s47, 32                                     // 000000002524: 922FA02F
	s_mov_b32 s48, 8                                           // 000000002528: BEB00088
	s_add_u32 s47, s47, s48                                    // 00000000252C: 802F302F
	v_lshrrev_b32_e32 v4, 4, v0                                // 000000002530: 20080084
	v_and_b32_e32 v5, 15, v0                                   // 000000002534: 260A008F
	v_and_b32_e32 v6, 3, v5                                    // 000000002538: 260C0A83
	v_lshrrev_b32_e32 v7, 2, v5                                // 00000000253C: 200E0A82
	v_lshlrev_b32_e32 v4, 2, v4                                // 000000002540: 24080882
	v_mul_lo_u32 v6, v6, s47                                   // 000000002544: D2850006 00005F06
	v_lshlrev_b32_e32 v7, 5, v7                                // 00000000254C: 240E0E85
	v_add_u32_e32 v4, v4, v6                                   // 000000002550: 68080D04
	v_add_u32_e32 v4, v4, v7                                   // 000000002554: 68080F04
	v_lshlrev_b32_e32 v42, 2, v4                               // 000000002558: 24540882
	s_mul_i32 s47, 0xc20, s44                                  // 00000000255C: 922F2CFF 00000C20
	s_add_u32 s53, 0, s47                                      // 000000002564: 80352F80
	s_add_u32 s54, 0x3080, s53                                 // 000000002568: 803635FF 00003080
	s_add_u32 s55, 0x3080, s54                                 // 000000002570: 803736FF 00003080
	s_mov_b32 s52, 0x800                                       // 000000002578: BEB400FF 00000800
	s_mul_i32 s46, 0x80, s41                                   // 000000002580: 922E29FF 00000080
	s_sub_i32 s48, s33, s46                                    // 000000002588: 81B02E21
	s_cmp_lt_u32 s48, 0x80                                     // 00000000258C: BF0AFF30 00000080
	s_cselect_b32 s47, s48, 0x80                               // 000000002594: 852FFF30 00000080
	s_mul_i32 s48, s36, s46                                    // 00000000259C: 92302E24
	s_mul_hi_u32 s49, s36, s46                                 // 0000000025A0: 96312E24
	s_add_u32 s8, s8, s48                                      // 0000000025A4: 80083008
	s_addc_u32 s9, s9, s49                                     // 0000000025A8: 82093109
	s_mul_i32 s48, s36, s47                                    // 0000000025AC: 92302F24
	s_mov_b32 s10, s48                                         // 0000000025B0: BE8A0030
	s_mov_b32 s11, 0x20000                                     // 0000000025B4: BE8B00FF 00020000
	s_lshr_b32 s48, s76, 7                                     // 0000000025BC: 8F30874C
	s_mul_i32 s47, s52, s75                                    // 0000000025C0: 922F4B34
	s_mul_i32 s47, s48, s47                                    // 0000000025C4: 922F2F30
	s_add_u32 s8, s47, s8                                      // 0000000025C8: 8008082F
	s_addc_u32 s9, 0, s9                                       // 0000000025CC: 82090980
	s_sub_u32 s10, s10, s47                                    // 0000000025D0: 808A2F0A
	s_lshl_b32 s47, s44, 5                                     // 0000000025D4: 8E2F852C
	s_mul_i32 s47, s36, s47                                    // 0000000025D8: 922F2F24
	v_lshlrev_b32_e32 v44, 4, v0                               // 0000000025DC: 24580084
	v_add_u32_e32 v44, s47, v44                                // 0000000025E0: 6858582F
	s_mov_b32 s47, 0x400                                       // 0000000025E4: BEAF00FF 00000400
	v_add_u32_e64 v45, v44, s47                                // 0000000025EC: D134002D 00005F2C
	s_mul_i32 s47, s36, 16                                     // 0000000025F4: 922F9024
	v_add_u32_e64 v46, v44, s47                                // 0000000025F8: D134002E 00005F2C
	v_add_u32_e64 v47, v45, s47                                // 000000002600: D134002F 00005F2D
	s_add_u32 m0, 0, s53                                       // 000000002608: 807C3580
	buffer_load_dword v30, s[4:7], 0 offen lds                 // 00000000260C: E0511000 8001001E
	s_add_u32 m0, 0x100, s53                                   // 000000002614: 807C35FF 00000100
	buffer_load_dword v31, s[4:7], 0 offen lds                 // 00000000261C: E0511000 8001001F
	s_add_u32 m0, 0x200, s53                                   // 000000002624: 807C35FF 00000200
	buffer_load_dword v32, s[4:7], 0 offen lds                 // 00000000262C: E0511000 80010020
	s_add_u32 m0, 0x300, s53                                   // 000000002634: 807C35FF 00000300
	buffer_load_dword v33, s[4:7], 0 offen lds                 // 00000000263C: E0511000 80010021
	s_add_u32 m0, 0x400, s53                                   // 000000002644: 807C35FF 00000400
	buffer_load_dword v34, s[4:7], 0 offen lds                 // 00000000264C: E0511000 80010022
	s_add_u32 m0, 0x500, s53                                   // 000000002654: 807C35FF 00000500
	buffer_load_dword v35, s[4:7], 0 offen lds                 // 00000000265C: E0511000 80010023
	s_add_u32 m0, 0x600, s53                                   // 000000002664: 807C35FF 00000600
	buffer_load_dword v36, s[4:7], 0 offen lds                 // 00000000266C: E0511000 80010024
	s_add_u32 m0, 0x700, s53                                   // 000000002674: 807C35FF 00000700
	buffer_load_dword v37, s[4:7], 0 offen lds                 // 00000000267C: E0511000 80010025
	s_add_u32 m0, 0x800, s53                                   // 000000002684: 807C35FF 00000800
	buffer_load_dword v38, s[4:7], 0 offen lds                 // 00000000268C: E0511000 80010026
	s_add_u32 m0, 0x900, s53                                   // 000000002694: 807C35FF 00000900
	buffer_load_dword v39, s[4:7], 0 offen lds                 // 00000000269C: E0511000 80010027
	s_add_u32 m0, 0xa00, s53                                   // 0000000026A4: 807C35FF 00000A00
	buffer_load_dword v40, s[4:7], 0 offen lds                 // 0000000026AC: E0511000 80010028
	s_add_u32 m0, 0xb00, s53                                   // 0000000026B4: 807C35FF 00000B00
	buffer_load_dword v41, s[4:7], 0 offen lds                 // 0000000026BC: E0511000 80010029
	s_mov_b32 s50, 0                                           // 0000000026C4: BEB20080
	s_add_u32 s47, 0x80, s50                                   // 0000000026C8: 802F32FF 00000080
	s_cmp_lt_u32 s47, s34                                      // 0000000026D0: BF0A222F
	s_cselect_b32 s51, s51, 0                                  // 0000000026D4: 85338033
	s_add_u32 s4, s51, s4                                      // 0000000026D8: 80040433
	s_addc_u32 s5, 0, s5                                       // 0000000026DC: 82050580
	s_sub_u32 s6, s6, s51                                      // 0000000026E0: 80863306
	v_mov_b32_e32 v50, 0                                       // 0000000026E4: 7E640280
	v_mov_b32_e32 v51, 0                                       // 0000000026E8: 7E660280
	v_mov_b32_e32 v52, 0                                       // 0000000026EC: 7E680280
	v_mov_b32_e32 v53, 0                                       // 0000000026F0: 7E6A0280
	v_mov_b32_e32 v54, 0                                       // 0000000026F4: 7E6C0280
	v_mov_b32_e32 v55, 0                                       // 0000000026F8: 7E6E0280
	v_mov_b32_e32 v56, 0                                       // 0000000026FC: 7E700280
	v_mov_b32_e32 v57, 0                                       // 000000002700: 7E720280
	buffer_load_dwordx4 a[0:3], v44, s[8:11], 0 offen          // 000000002704: E05C1000 8082002C
	buffer_load_dwordx4 a[4:7], v45, s[8:11], 0 offen          // 00000000270C: E05C1000 8082042D
	buffer_load_dwordx4 a[8:11], v46, s[8:11], 0 offen         // 000000002714: E05C1000 8082082E
	buffer_load_dwordx4 a[12:15], v47, s[8:11], 0 offen        // 00000000271C: E05C1000 80820C2F
	s_mov_b32 s50, 0                                           // 000000002724: BEB20080
	s_add_u32 s47, 0x80, s50                                   // 000000002728: 802F32FF 00000080
	s_cmp_lt_u32 s47, s34                                      // 000000002730: BF0A222F
	s_cselect_b32 s52, s52, 0                                  // 000000002734: 85348034
	s_add_u32 s8, s52, s8                                      // 000000002738: 80080834
	s_addc_u32 s9, 0, s9                                       // 00000000273C: 82090980
	s_sub_u32 s10, s10, s52                                    // 000000002740: 808A340A
	s_add_u32 m0, 0, s54                                       // 000000002744: 807C3680
	buffer_load_dword v30, s[4:7], 0 offen lds                 // 000000002748: E0511000 8001001E
	s_add_u32 m0, 0x100, s54                                   // 000000002750: 807C36FF 00000100
	buffer_load_dword v31, s[4:7], 0 offen lds                 // 000000002758: E0511000 8001001F
	s_add_u32 m0, 0x200, s54                                   // 000000002760: 807C36FF 00000200
	buffer_load_dword v32, s[4:7], 0 offen lds                 // 000000002768: E0511000 80010020
	s_add_u32 m0, 0x300, s54                                   // 000000002770: 807C36FF 00000300
	buffer_load_dword v33, s[4:7], 0 offen lds                 // 000000002778: E0511000 80010021
	;; [unrolled: 2-line block ×4, first 2 shown]
	s_add_u32 m0, 0x600, s54                                   // 0000000027A0: 807C36FF 00000600
	buffer_load_dword v36, s[4:7], 0 offen lds                 // 0000000027A8: E0511000 80010024
	s_add_u32 m0, 0x700, s54                                   // 0000000027B0: 807C36FF 00000700
	buffer_load_dword v37, s[4:7], 0 offen lds                 // 0000000027B8: E0511000 80010025
	s_add_u32 m0, 0x800, s54                                   // 0000000027C0: 807C36FF 00000800
	buffer_load_dword v38, s[4:7], 0 offen lds                 // 0000000027C8: E0511000 80010026
	s_add_u32 m0, 0x900, s54                                   // 0000000027D0: 807C36FF 00000900
	buffer_load_dword v39, s[4:7], 0 offen lds                 // 0000000027D8: E0511000 80010027
	s_add_u32 m0, 0xa00, s54                                   // 0000000027E0: 807C36FF 00000A00
	buffer_load_dword v40, s[4:7], 0 offen lds                 // 0000000027E8: E0511000 80010028
	s_add_u32 m0, 0xb00, s54                                   // 0000000027F0: 807C36FF 00000B00
	buffer_load_dword v41, s[4:7], 0 offen lds                 // 0000000027F8: E0511000 80010029
	s_mov_b32 s50, 0x80                                        // 000000002800: BEB200FF 00000080
	s_add_u32 s47, 0x80, s50                                   // 000000002808: 802F32FF 00000080
	s_cmp_lt_u32 s47, s34                                      // 000000002810: BF0A222F
	s_cselect_b32 s51, s51, 0                                  // 000000002814: 85338033
	s_add_u32 s4, s51, s4                                      // 000000002818: 80040433
	s_addc_u32 s5, 0, s5                                       // 00000000281C: 82050580
	s_sub_u32 s6, s6, s51                                      // 000000002820: 80863306
	v_mov_b32_e32 v58, 0                                       // 000000002824: 7E740280
	v_mov_b32_e32 v59, 0                                       // 000000002828: 7E760280
	v_mov_b32_e32 v60, 0                                       // 00000000282C: 7E780280
	v_mov_b32_e32 v61, 0                                       // 000000002830: 7E7A0280
	v_mov_b32_e32 v62, 0                                       // 000000002834: 7E7C0280
	v_mov_b32_e32 v63, 0                                       // 000000002838: 7E7E0280
	v_mov_b32_e32 v64, 0                                       // 00000000283C: 7E800280
	v_mov_b32_e32 v65, 0                                       // 000000002840: 7E820280
	buffer_load_dwordx4 a[16:19], v44, s[8:11], 0 offen        // 000000002844: E05C1000 8082102C
	buffer_load_dwordx4 a[20:23], v45, s[8:11], 0 offen        // 00000000284C: E05C1000 8082142D
	buffer_load_dwordx4 a[24:27], v46, s[8:11], 0 offen        // 000000002854: E05C1000 8082182E
	buffer_load_dwordx4 a[28:31], v47, s[8:11], 0 offen        // 00000000285C: E05C1000 80821C2F
	s_mov_b32 s50, 0x80                                        // 000000002864: BEB200FF 00000080
	s_add_u32 s47, 0x80, s50                                   // 00000000286C: 802F32FF 00000080
	s_cmp_lt_u32 s47, s34                                      // 000000002874: BF0A222F
	s_cselect_b32 s52, s52, 0                                  // 000000002878: 85348034
	s_add_u32 s8, s52, s8                                      // 00000000287C: 80080834
	s_addc_u32 s9, 0, s9                                       // 000000002880: 82090980
	s_sub_u32 s10, s10, s52                                    // 000000002884: 808A340A
	s_add_u32 m0, 0, s55                                       // 000000002888: 807C3780
	buffer_load_dword v30, s[4:7], 0 offen lds                 // 00000000288C: E0511000 8001001E
	s_add_u32 m0, 0x100, s55                                   // 000000002894: 807C37FF 00000100
	buffer_load_dword v31, s[4:7], 0 offen lds                 // 00000000289C: E0511000 8001001F
	s_add_u32 m0, 0x200, s55                                   // 0000000028A4: 807C37FF 00000200
	buffer_load_dword v32, s[4:7], 0 offen lds                 // 0000000028AC: E0511000 80010020
	s_add_u32 m0, 0x300, s55                                   // 0000000028B4: 807C37FF 00000300
	buffer_load_dword v33, s[4:7], 0 offen lds                 // 0000000028BC: E0511000 80010021
	s_add_u32 m0, 0x400, s55                                   // 0000000028C4: 807C37FF 00000400
	buffer_load_dword v34, s[4:7], 0 offen lds                 // 0000000028CC: E0511000 80010022
	s_add_u32 m0, 0x500, s55                                   // 0000000028D4: 807C37FF 00000500
	buffer_load_dword v35, s[4:7], 0 offen lds                 // 0000000028DC: E0511000 80010023
	s_add_u32 m0, 0x600, s55                                   // 0000000028E4: 807C37FF 00000600
	buffer_load_dword v36, s[4:7], 0 offen lds                 // 0000000028EC: E0511000 80010024
	s_add_u32 m0, 0x700, s55                                   // 0000000028F4: 807C37FF 00000700
	buffer_load_dword v37, s[4:7], 0 offen lds                 // 0000000028FC: E0511000 80010025
	s_add_u32 m0, 0x800, s55                                   // 000000002904: 807C37FF 00000800
	buffer_load_dword v38, s[4:7], 0 offen lds                 // 00000000290C: E0511000 80010026
	s_add_u32 m0, 0x900, s55                                   // 000000002914: 807C37FF 00000900
	buffer_load_dword v39, s[4:7], 0 offen lds                 // 00000000291C: E0511000 80010027
	s_add_u32 m0, 0xa00, s55                                   // 000000002924: 807C37FF 00000A00
	buffer_load_dword v40, s[4:7], 0 offen lds                 // 00000000292C: E0511000 80010028
	s_add_u32 m0, 0xb00, s55                                   // 000000002934: 807C37FF 00000B00
	buffer_load_dword v41, s[4:7], 0 offen lds                 // 00000000293C: E0511000 80010029
	s_mov_b32 s50, 0x100                                       // 000000002944: BEB200FF 00000100
	s_add_u32 s47, 0x80, s50                                   // 00000000294C: 802F32FF 00000080
	s_cmp_lt_u32 s47, s34                                      // 000000002954: BF0A222F
	s_cselect_b32 s51, s51, 0                                  // 000000002958: 85338033
	s_add_u32 s4, s51, s4                                      // 00000000295C: 80040433
	s_addc_u32 s5, 0, s5                                       // 000000002960: 82050580
	s_sub_u32 s6, s6, s51                                      // 000000002964: 80863306
	v_mov_b32_e32 v66, 0                                       // 000000002968: 7E840280
	v_mov_b32_e32 v67, 0                                       // 00000000296C: 7E860280
	v_mov_b32_e32 v68, 0                                       // 000000002970: 7E880280
	v_mov_b32_e32 v69, 0                                       // 000000002974: 7E8A0280
	v_mov_b32_e32 v70, 0                                       // 000000002978: 7E8C0280
	v_mov_b32_e32 v71, 0                                       // 00000000297C: 7E8E0280
	v_mov_b32_e32 v72, 0                                       // 000000002980: 7E900280
	v_mov_b32_e32 v73, 0                                       // 000000002984: 7E920280
	v_mov_b32_e32 v74, 0                                       // 000000002988: 7E940280
	v_mov_b32_e32 v75, 0                                       // 00000000298C: 7E960280
	v_mov_b32_e32 v76, 0                                       // 000000002990: 7E980280
	v_mov_b32_e32 v77, 0                                       // 000000002994: 7E9A0280
	v_mov_b32_e32 v78, 0                                       // 000000002998: 7E9C0280
	v_mov_b32_e32 v79, 0                                       // 00000000299C: 7E9E0280
	v_mov_b32_e32 v80, 0                                       // 0000000029A0: 7EA00280
	v_mov_b32_e32 v81, 0                                       // 0000000029A4: 7EA20280
	v_mov_b32_e32 v82, 0                                       // 0000000029A8: 7EA40280
	v_mov_b32_e32 v83, 0                                       // 0000000029AC: 7EA60280
	v_mov_b32_e32 v84, 0                                       // 0000000029B0: 7EA80280
	v_mov_b32_e32 v85, 0                                       // 0000000029B4: 7EAA0280
	v_mov_b32_e32 v86, 0                                       // 0000000029B8: 7EAC0280
	v_mov_b32_e32 v87, 0                                       // 0000000029BC: 7EAE0280
	v_mov_b32_e32 v88, 0                                       // 0000000029C0: 7EB00280
	v_mov_b32_e32 v89, 0                                       // 0000000029C4: 7EB20280
	v_mov_b32_e32 v90, 0                                       // 0000000029C8: 7EB40280
	v_mov_b32_e32 v91, 0                                       // 0000000029CC: 7EB60280
	v_mov_b32_e32 v92, 0                                       // 0000000029D0: 7EB80280
	v_mov_b32_e32 v93, 0                                       // 0000000029D4: 7EBA0280
	v_mov_b32_e32 v94, 0                                       // 0000000029D8: 7EBC0280
	v_mov_b32_e32 v95, 0                                       // 0000000029DC: 7EBE0280
	v_mov_b32_e32 v96, 0                                       // 0000000029E0: 7EC00280
	v_mov_b32_e32 v97, 0                                       // 0000000029E4: 7EC20280
	s_mov_b32 s40, s34                                         // 0000000029E8: BEA80022
	s_mov_b32 s39, 0                                           // 0000000029EC: BEA70080
	s_waitcnt vmcnt(32)                                        // 0000000029F0: BF8C8F70
	s_barrier                                                  // 0000000029F4: BF8A0000
	ds_read_b128 a[48:51], v42                                 // 0000000029F8: DBFE0000 3000002A
	ds_read_b128 a[52:55], v42 offset:64                       // 000000002A00: DBFE0040 3400002A
	ds_read_b128 a[56:59], v42 offset:512                      // 000000002A08: DBFE0200 3800002A
	ds_read_b128 a[60:63], v42 offset:576                      // 000000002A10: DBFE0240 3C00002A
	ds_read_b128 a[64:67], v42 offset:1024                     // 000000002A18: DBFE0400 4000002A
	ds_read_b128 a[68:71], v42 offset:1088                     // 000000002A20: DBFE0440 4400002A
	ds_read_b128 a[72:75], v42 offset:1536                     // 000000002A28: DBFE0600 4800002A
	ds_read_b128 a[76:79], v42 offset:1600                     // 000000002A30: DBFE0640 4C00002A
	ds_read_b128 a[80:83], v42 offset:2048                     // 000000002A38: DBFE0800 5000002A
	ds_read_b128 a[84:87], v42 offset:2112                     // 000000002A40: DBFE0840 5400002A
	ds_read_b128 a[88:91], v42 offset:2560                     // 000000002A48: DBFE0A00 5800002A
	ds_read_b128 a[92:95], v42 offset:2624                     // 000000002A50: DBFE0A40 5C00002A
	s_mov_b32 s47, 0                                           // 000000002A58: BEAF0080
	s_mov_b32 s48, 1.0                                         // 000000002A5C: BEB000F2
	s_cmp_eq_u32 s47, s75                                      // 000000002A60: BF064B2F
	s_cselect_b32 s47, s48, 0                                  // 000000002A64: 852F8030
	v_mul_f32_e64 v148, v148, s47                              // 000000002A68: D1050094 00005F94
	v_mul_f32_e64 v149, v149, s47                              // 000000002A70: D1050095 00005F95
	v_mul_f32_e64 v150, v150, s47                              // 000000002A78: D1050096 00005F96
	v_mul_f32_e64 v151, v151, s47                              // 000000002A80: D1050097 00005F97
	v_mul_f32_e64 v152, v152, s47                              // 000000002A88: D1050098 00005F98
	v_mul_f32_e64 v153, v153, s47                              // 000000002A90: D1050099 00005F99
	v_mul_f32_e64 v154, v154, s47                              // 000000002A98: D105009A 00005F9A
	v_mul_f32_e64 v155, v155, s47                              // 000000002AA0: D105009B 00005F9B
	v_and_b32_e64 v16, v0, 15                                  // 000000002AA8: D1130010 00011F00
	v_mul_lo_u32 v16, v16, s37                                 // 000000002AB0: D2850010 00004B10
	v_lshrrev_b32_e32 v4, 4, v0                                // 000000002AB8: 20080084
	v_mul_i32_i24_e32 v4, 8, v4                                // 000000002ABC: 0C080888
	v_add_u32_e32 v16, v4, v16                                 // 000000002AC0: 68202104
	s_mul_i32 s47, 32, s44                                     // 000000002AC4: 922F2CA0
	s_mul_i32 s47, 2, s47                                      // 000000002AC8: 922F2F82
	v_add_u32_e32 v16, s47, v16                                // 000000002ACC: 6820202F
	s_mul_i32 s47, 16, s37                                     // 000000002AD0: 922F2590
	v_add_u32_e32 v17, s47, v16                                // 000000002AD4: 6822202F
	v_add_u32_e32 v18, s47, v17                                // 000000002AD8: 6824222F
	v_add_u32_e32 v19, s47, v18                                // 000000002ADC: 6826242F
	v_add_u32_e32 v20, s47, v19                                // 000000002AE0: 6828262F
	v_add_u32_e32 v21, s47, v20                                // 000000002AE4: 682A282F
	s_mul_i32 s47, s44, s37                                    // 000000002AE8: 922F252C
	v_lshlrev_b32_e32 v5, 2, v0                                // 000000002AEC: 240A0082
	v_add_u32_e32 v22, s47, v5                                 // 000000002AF0: 682C0A2F
	s_mul_i32 s47, s42, 0x60                                   // 000000002AF4: 922FFF2A 00000060
	s_add_i32 s77, s47, s44                                    // 000000002AFC: 814D2C2F
	s_cmp_lt_i32 s39, s40                                      // 000000002B00: BF042827
	s_cbranch_scc0 label_074F                                  // 000000002B04: BF84048D

0000000000002b08 <label_02C2>:
	s_waitcnt vmcnt(16) lgkmcnt(0)                             // 000000002B08: BF8C4070
	s_barrier                                                  // 000000002B0C: BF8A0000
	v_mfma_i32_16x16x32_i8 v[50:53], a[0:1], a[48:49], v[50:53]// 000000002B10: D3D70032 1CCA6100
	s_add_u32 m0, 0, s53                                       // 000000002B18: 807C3580
	buffer_load_dword v30, s[4:7], 0 offen lds                 // 000000002B1C: E0511000 8001001E
	v_mfma_i32_16x16x32_i8 v[50:53], a[2:3], a[50:51], v[50:53]// 000000002B24: D3D70032 1CCA6502
	ds_read_b128 a[96:99], v42 offset:12416                    // 000000002B2C: DBFE3080 6000002A
	v_mfma_i32_16x16x32_i8 v[50:53], a[4:5], a[52:53], v[50:53]// 000000002B34: D3D70032 1CCA6904
	s_add_u32 m0, 0x100, s53                                   // 000000002B3C: 807C35FF 00000100
	buffer_load_dword v31, s[4:7], 0 offen lds                 // 000000002B44: E0511000 8001001F
	v_mfma_i32_16x16x32_i8 v[50:53], a[6:7], a[54:55], v[50:53]// 000000002B4C: D3D70032 1CCA6D06
	ds_read_b128 a[100:103], v42 offset:12480                  // 000000002B54: DBFE30C0 6400002A
	v_mfma_i32_16x16x32_i8 v[54:57], a[8:9], a[48:49], v[54:57]// 000000002B5C: D3D70036 1CDA6108
	buffer_load_dwordx4 a[32:35], v44, s[8:11], 0 offen        // 000000002B64: E05C1000 8082202C
	v_mfma_i32_16x16x32_i8 v[54:57], a[10:11], a[50:51], v[54:57]// 000000002B6C: D3D70036 1CDA650A
	v_mfma_i32_16x16x32_i8 v[54:57], a[12:13], a[52:53], v[54:57]// 000000002B74: D3D70036 1CDA690C
	buffer_load_dwordx4 a[36:39], v45, s[8:11], 0 offen        // 000000002B7C: E05C1000 8082242D
	v_mfma_i32_16x16x32_i8 v[54:57], a[14:15], a[54:55], v[54:57]// 000000002B84: D3D70036 1CDA6D0E
	v_mfma_i32_16x16x32_i8 v[58:61], a[0:1], a[56:57], v[58:61]// 000000002B8C: D3D7003A 1CEA7100
	s_add_u32 m0, 0x200, s53                                   // 000000002B94: 807C35FF 00000200
	buffer_load_dword v32, s[4:7], 0 offen lds                 // 000000002B9C: E0511000 80010020
	v_mfma_i32_16x16x32_i8 v[58:61], a[2:3], a[58:59], v[58:61]// 000000002BA4: D3D7003A 1CEA7502
	ds_read_b128 a[104:107], v42 offset:12928                  // 000000002BAC: DBFE3280 6800002A
	v_mfma_i32_16x16x32_i8 v[58:61], a[4:5], a[60:61], v[58:61]// 000000002BB4: D3D7003A 1CEA7904
	s_add_u32 m0, 0x300, s53                                   // 000000002BBC: 807C35FF 00000300
	buffer_load_dword v33, s[4:7], 0 offen lds                 // 000000002BC4: E0511000 80010021
	v_mfma_i32_16x16x32_i8 v[58:61], a[6:7], a[62:63], v[58:61]// 000000002BCC: D3D7003A 1CEA7D06
	ds_read_b128 a[108:111], v42 offset:12992                  // 000000002BD4: DBFE32C0 6C00002A
	v_mfma_i32_16x16x32_i8 v[62:65], a[8:9], a[56:57], v[62:65]// 000000002BDC: D3D7003E 1CFA7108
	buffer_load_dwordx4 a[40:43], v46, s[8:11], 0 offen        // 000000002BE4: E05C1000 8082282E
	v_mfma_i32_16x16x32_i8 v[62:65], a[10:11], a[58:59], v[62:65]// 000000002BEC: D3D7003E 1CFA750A
	v_mfma_i32_16x16x32_i8 v[62:65], a[12:13], a[60:61], v[62:65]// 000000002BF4: D3D7003E 1CFA790C
	buffer_load_dwordx4 a[44:47], v47, s[8:11], 0 offen        // 000000002BFC: E05C1000 80822C2F
	v_mfma_i32_16x16x32_i8 v[62:65], a[14:15], a[62:63], v[62:65]// 000000002C04: D3D7003E 1CFA7D0E
	v_mfma_i32_16x16x32_i8 v[66:69], a[0:1], a[64:65], v[66:69]// 000000002C0C: D3D70042 1D0A8100
	s_add_u32 m0, 0x400, s53                                   // 000000002C14: 807C35FF 00000400
	buffer_load_dword v34, s[4:7], 0 offen lds                 // 000000002C1C: E0511000 80010022
	v_mfma_i32_16x16x32_i8 v[66:69], a[2:3], a[66:67], v[66:69]// 000000002C24: D3D70042 1D0A8502
	ds_read_b128 a[112:115], v42 offset:13440                  // 000000002C2C: DBFE3480 7000002A
	v_mfma_i32_16x16x32_i8 v[66:69], a[4:5], a[68:69], v[66:69]// 000000002C34: D3D70042 1D0A8904
	s_add_u32 m0, 0x500, s53                                   // 000000002C3C: 807C35FF 00000500
	buffer_load_dword v35, s[4:7], 0 offen lds                 // 000000002C44: E0511000 80010023
	v_mfma_i32_16x16x32_i8 v[66:69], a[6:7], a[70:71], v[66:69]// 000000002C4C: D3D70042 1D0A8D06
	ds_read_b128 a[116:119], v42 offset:13504                  // 000000002C54: DBFE34C0 7400002A
	v_mfma_i32_16x16x32_i8 v[70:73], a[8:9], a[64:65], v[70:73]// 000000002C5C: D3D70046 1D1A8108
	v_mfma_i32_16x16x32_i8 v[70:73], a[10:11], a[66:67], v[70:73]// 000000002C64: D3D70046 1D1A850A
	v_mfma_i32_16x16x32_i8 v[70:73], a[12:13], a[68:69], v[70:73]// 000000002C6C: D3D70046 1D1A890C
	v_mfma_i32_16x16x32_i8 v[70:73], a[14:15], a[70:71], v[70:73]// 000000002C74: D3D70046 1D1A8D0E
	v_mfma_i32_16x16x32_i8 v[74:77], a[0:1], a[72:73], v[74:77]// 000000002C7C: D3D7004A 1D2A9100
	s_add_u32 m0, 0x600, s53                                   // 000000002C84: 807C35FF 00000600
	buffer_load_dword v36, s[4:7], 0 offen lds                 // 000000002C8C: E0511000 80010024
	v_mfma_i32_16x16x32_i8 v[74:77], a[2:3], a[74:75], v[74:77]// 000000002C94: D3D7004A 1D2A9502
	ds_read_b128 a[120:123], v42 offset:13952                  // 000000002C9C: DBFE3680 7800002A
	v_mfma_i32_16x16x32_i8 v[74:77], a[4:5], a[76:77], v[74:77]// 000000002CA4: D3D7004A 1D2A9904
	s_add_u32 m0, 0x700, s53                                   // 000000002CAC: 807C35FF 00000700
	buffer_load_dword v37, s[4:7], 0 offen lds                 // 000000002CB4: E0511000 80010025
	v_mfma_i32_16x16x32_i8 v[74:77], a[6:7], a[78:79], v[74:77]// 000000002CBC: D3D7004A 1D2A9D06
	ds_read_b128 a[124:127], v42 offset:14016                  // 000000002CC4: DBFE36C0 7C00002A
	v_mfma_i32_16x16x32_i8 v[78:81], a[8:9], a[72:73], v[78:81]// 000000002CCC: D3D7004E 1D3A9108
	v_mfma_i32_16x16x32_i8 v[78:81], a[10:11], a[74:75], v[78:81]// 000000002CD4: D3D7004E 1D3A950A
	v_mfma_i32_16x16x32_i8 v[78:81], a[12:13], a[76:77], v[78:81]// 000000002CDC: D3D7004E 1D3A990C
	v_mfma_i32_16x16x32_i8 v[78:81], a[14:15], a[78:79], v[78:81]// 000000002CE4: D3D7004E 1D3A9D0E
	v_mfma_i32_16x16x32_i8 v[82:85], a[0:1], a[80:81], v[82:85]// 000000002CEC: D3D70052 1D4AA100
	s_add_u32 m0, 0x800, s53                                   // 000000002CF4: 807C35FF 00000800
	buffer_load_dword v38, s[4:7], 0 offen lds                 // 000000002CFC: E0511000 80010026
	v_mfma_i32_16x16x32_i8 v[82:85], a[2:3], a[82:83], v[82:85]// 000000002D04: D3D70052 1D4AA502
	ds_read_b128 a[128:131], v42 offset:14464                  // 000000002D0C: DBFE3880 8000002A
	v_mfma_i32_16x16x32_i8 v[82:85], a[4:5], a[84:85], v[82:85]// 000000002D14: D3D70052 1D4AA904
	s_add_u32 m0, 0x900, s53                                   // 000000002D1C: 807C35FF 00000900
	buffer_load_dword v39, s[4:7], 0 offen lds                 // 000000002D24: E0511000 80010027
	v_mfma_i32_16x16x32_i8 v[82:85], a[6:7], a[86:87], v[82:85]// 000000002D2C: D3D70052 1D4AAD06
	ds_read_b128 a[132:135], v42 offset:14528                  // 000000002D34: DBFE38C0 8400002A
	v_mfma_i32_16x16x32_i8 v[86:89], a[8:9], a[80:81], v[86:89]// 000000002D3C: D3D70056 1D5AA108
	v_mfma_i32_16x16x32_i8 v[86:89], a[10:11], a[82:83], v[86:89]// 000000002D44: D3D70056 1D5AA50A
	v_mfma_i32_16x16x32_i8 v[86:89], a[12:13], a[84:85], v[86:89]// 000000002D4C: D3D70056 1D5AA90C
	v_mfma_i32_16x16x32_i8 v[86:89], a[14:15], a[86:87], v[86:89]// 000000002D54: D3D70056 1D5AAD0E
	v_mfma_i32_16x16x32_i8 v[90:93], a[0:1], a[88:89], v[90:93]// 000000002D5C: D3D7005A 1D6AB100
	s_add_u32 m0, 0xa00, s53                                   // 000000002D64: 807C35FF 00000A00
	buffer_load_dword v40, s[4:7], 0 offen lds                 // 000000002D6C: E0511000 80010028
	v_mfma_i32_16x16x32_i8 v[90:93], a[2:3], a[90:91], v[90:93]// 000000002D74: D3D7005A 1D6AB502
	ds_read_b128 a[136:139], v42 offset:14976                  // 000000002D7C: DBFE3A80 8800002A
	v_mfma_i32_16x16x32_i8 v[90:93], a[4:5], a[92:93], v[90:93]// 000000002D84: D3D7005A 1D6AB904
	s_add_u32 m0, 0xb00, s53                                   // 000000002D8C: 807C35FF 00000B00
	buffer_load_dword v41, s[4:7], 0 offen lds                 // 000000002D94: E0511000 80010029
	v_mfma_i32_16x16x32_i8 v[90:93], a[6:7], a[94:95], v[90:93]// 000000002D9C: D3D7005A 1D6ABD06
	ds_read_b128 a[140:143], v42 offset:15040                  // 000000002DA4: DBFE3AC0 8C00002A
	v_mfma_i32_16x16x32_i8 v[94:97], a[8:9], a[88:89], v[94:97]// 000000002DAC: D3D7005E 1D7AB108
	v_mfma_i32_16x16x32_i8 v[94:97], a[10:11], a[90:91], v[94:97]// 000000002DB4: D3D7005E 1D7AB50A
	s_add_u32 s47, 0x200, s39                                  // 000000002DBC: 802F27FF 00000200
	s_cmp_lt_u32 s47, s40                                      // 000000002DC4: BF0A282F
	s_cselect_b32 s51, s51, 0                                  // 000000002DC8: 85338033
	s_add_u32 s47, 0x180, s39                                  // 000000002DCC: 802F27FF 00000180
	s_cmp_lt_u32 s47, s40                                      // 000000002DD4: BF0A282F
	s_cselect_b32 s52, s52, 0                                  // 000000002DD8: 85348034
	v_mfma_i32_16x16x32_i8 v[94:97], a[12:13], a[92:93], v[94:97]// 000000002DDC: D3D7005E 1D7AB90C
	v_mfma_i32_16x16x32_i8 v[94:97], a[14:15], a[94:95], v[94:97]// 000000002DE4: D3D7005E 1D7ABD0E
	s_add_u32 s4, s51, s4                                      // 000000002DEC: 80040433
	s_addc_u32 s5, 0, s5                                       // 000000002DF0: 82050580
	s_sub_u32 s6, s6, s51                                      // 000000002DF4: 80863306
	s_add_u32 s8, s52, s8                                      // 000000002DF8: 80080834
	s_addc_u32 s9, 0, s9                                       // 000000002DFC: 82090980
	s_sub_u32 s10, s10, s52                                    // 000000002E00: 808A340A
	s_addk_i32 s39, 0x80                                       // 000000002E04: B7270080
	s_cmp_lt_i32 s39, s40                                      // 000000002E08: BF042827
	s_cbranch_scc0 label_074F                                  // 000000002E0C: BF8403CB
	s_waitcnt vmcnt(16) lgkmcnt(0)                             // 000000002E10: BF8C4070
	s_barrier                                                  // 000000002E14: BF8A0000
	v_mfma_i32_16x16x32_i8 v[50:53], a[16:17], a[96:97], v[50:53]// 000000002E18: D3D70032 1CCAC110
	s_add_u32 m0, 0, s54                                       // 000000002E20: 807C3680
	buffer_load_dword v30, s[4:7], 0 offen lds                 // 000000002E24: E0511000 8001001E
	v_mfma_i32_16x16x32_i8 v[50:53], a[18:19], a[98:99], v[50:53]// 000000002E2C: D3D70032 1CCAC512
	ds_read_b128 a[48:51], v42 offset:24832                    // 000000002E34: DBFE6100 3000002A
	v_mfma_i32_16x16x32_i8 v[50:53], a[20:21], a[100:101], v[50:53]// 000000002E3C: D3D70032 1CCAC914
	s_add_u32 m0, 0x100, s54                                   // 000000002E44: 807C36FF 00000100
	buffer_load_dword v31, s[4:7], 0 offen lds                 // 000000002E4C: E0511000 8001001F
	v_mfma_i32_16x16x32_i8 v[50:53], a[22:23], a[102:103], v[50:53]// 000000002E54: D3D70032 1CCACD16
	ds_read_b128 a[52:55], v42 offset:24896                    // 000000002E5C: DBFE6140 3400002A
	v_mfma_i32_16x16x32_i8 v[54:57], a[24:25], a[96:97], v[54:57]// 000000002E64: D3D70036 1CDAC118
	buffer_load_dwordx4 a[0:3], v44, s[8:11], 0 offen          // 000000002E6C: E05C1000 8082002C
	v_mfma_i32_16x16x32_i8 v[54:57], a[26:27], a[98:99], v[54:57]// 000000002E74: D3D70036 1CDAC51A
	v_mfma_i32_16x16x32_i8 v[54:57], a[28:29], a[100:101], v[54:57]// 000000002E7C: D3D70036 1CDAC91C
	buffer_load_dwordx4 a[4:7], v45, s[8:11], 0 offen          // 000000002E84: E05C1000 8082042D
	v_mfma_i32_16x16x32_i8 v[54:57], a[30:31], a[102:103], v[54:57]// 000000002E8C: D3D70036 1CDACD1E
	v_mfma_i32_16x16x32_i8 v[58:61], a[16:17], a[104:105], v[58:61]// 000000002E94: D3D7003A 1CEAD110
	s_add_u32 m0, 0x200, s54                                   // 000000002E9C: 807C36FF 00000200
	buffer_load_dword v32, s[4:7], 0 offen lds                 // 000000002EA4: E0511000 80010020
	v_mfma_i32_16x16x32_i8 v[58:61], a[18:19], a[106:107], v[58:61]// 000000002EAC: D3D7003A 1CEAD512
	ds_read_b128 a[56:59], v42 offset:25344                    // 000000002EB4: DBFE6300 3800002A
	v_mfma_i32_16x16x32_i8 v[58:61], a[20:21], a[108:109], v[58:61]// 000000002EBC: D3D7003A 1CEAD914
	s_add_u32 m0, 0x300, s54                                   // 000000002EC4: 807C36FF 00000300
	buffer_load_dword v33, s[4:7], 0 offen lds                 // 000000002ECC: E0511000 80010021
	v_mfma_i32_16x16x32_i8 v[58:61], a[22:23], a[110:111], v[58:61]// 000000002ED4: D3D7003A 1CEADD16
	ds_read_b128 a[60:63], v42 offset:25408                    // 000000002EDC: DBFE6340 3C00002A
	v_mfma_i32_16x16x32_i8 v[62:65], a[24:25], a[104:105], v[62:65]// 000000002EE4: D3D7003E 1CFAD118
	buffer_load_dwordx4 a[8:11], v46, s[8:11], 0 offen         // 000000002EEC: E05C1000 8082082E
	v_mfma_i32_16x16x32_i8 v[62:65], a[26:27], a[106:107], v[62:65]// 000000002EF4: D3D7003E 1CFAD51A
	v_mfma_i32_16x16x32_i8 v[62:65], a[28:29], a[108:109], v[62:65]// 000000002EFC: D3D7003E 1CFAD91C
	buffer_load_dwordx4 a[12:15], v47, s[8:11], 0 offen        // 000000002F04: E05C1000 80820C2F
	v_mfma_i32_16x16x32_i8 v[62:65], a[30:31], a[110:111], v[62:65]// 000000002F0C: D3D7003E 1CFADD1E
	v_mfma_i32_16x16x32_i8 v[66:69], a[16:17], a[112:113], v[66:69]// 000000002F14: D3D70042 1D0AE110
	s_add_u32 m0, 0x400, s54                                   // 000000002F1C: 807C36FF 00000400
	buffer_load_dword v34, s[4:7], 0 offen lds                 // 000000002F24: E0511000 80010022
	v_mfma_i32_16x16x32_i8 v[66:69], a[18:19], a[114:115], v[66:69]// 000000002F2C: D3D70042 1D0AE512
	ds_read_b128 a[64:67], v42 offset:25856                    // 000000002F34: DBFE6500 4000002A
	v_mfma_i32_16x16x32_i8 v[66:69], a[20:21], a[116:117], v[66:69]// 000000002F3C: D3D70042 1D0AE914
	s_add_u32 m0, 0x500, s54                                   // 000000002F44: 807C36FF 00000500
	buffer_load_dword v35, s[4:7], 0 offen lds                 // 000000002F4C: E0511000 80010023
	v_mfma_i32_16x16x32_i8 v[66:69], a[22:23], a[118:119], v[66:69]// 000000002F54: D3D70042 1D0AED16
	ds_read_b128 a[68:71], v42 offset:25920                    // 000000002F5C: DBFE6540 4400002A
	v_mfma_i32_16x16x32_i8 v[70:73], a[24:25], a[112:113], v[70:73]// 000000002F64: D3D70046 1D1AE118
	v_mfma_i32_16x16x32_i8 v[70:73], a[26:27], a[114:115], v[70:73]// 000000002F6C: D3D70046 1D1AE51A
	v_mfma_i32_16x16x32_i8 v[70:73], a[28:29], a[116:117], v[70:73]// 000000002F74: D3D70046 1D1AE91C
	v_mfma_i32_16x16x32_i8 v[70:73], a[30:31], a[118:119], v[70:73]// 000000002F7C: D3D70046 1D1AED1E
	v_mfma_i32_16x16x32_i8 v[74:77], a[16:17], a[120:121], v[74:77]// 000000002F84: D3D7004A 1D2AF110
	s_add_u32 m0, 0x600, s54                                   // 000000002F8C: 807C36FF 00000600
	buffer_load_dword v36, s[4:7], 0 offen lds                 // 000000002F94: E0511000 80010024
	v_mfma_i32_16x16x32_i8 v[74:77], a[18:19], a[122:123], v[74:77]// 000000002F9C: D3D7004A 1D2AF512
	ds_read_b128 a[72:75], v42 offset:26368                    // 000000002FA4: DBFE6700 4800002A
	v_mfma_i32_16x16x32_i8 v[74:77], a[20:21], a[124:125], v[74:77]// 000000002FAC: D3D7004A 1D2AF914
	s_add_u32 m0, 0x700, s54                                   // 000000002FB4: 807C36FF 00000700
	buffer_load_dword v37, s[4:7], 0 offen lds                 // 000000002FBC: E0511000 80010025
	v_mfma_i32_16x16x32_i8 v[74:77], a[22:23], a[126:127], v[74:77]// 000000002FC4: D3D7004A 1D2AFD16
	ds_read_b128 a[76:79], v42 offset:26432                    // 000000002FCC: DBFE6740 4C00002A
	v_mfma_i32_16x16x32_i8 v[78:81], a[24:25], a[120:121], v[78:81]// 000000002FD4: D3D7004E 1D3AF118
	v_mfma_i32_16x16x32_i8 v[78:81], a[26:27], a[122:123], v[78:81]// 000000002FDC: D3D7004E 1D3AF51A
	v_mfma_i32_16x16x32_i8 v[78:81], a[28:29], a[124:125], v[78:81]// 000000002FE4: D3D7004E 1D3AF91C
	v_mfma_i32_16x16x32_i8 v[78:81], a[30:31], a[126:127], v[78:81]// 000000002FEC: D3D7004E 1D3AFD1E
	v_mfma_i32_16x16x32_i8 v[82:85], a[16:17], a[128:129], v[82:85]// 000000002FF4: D3D70052 1D4B0110
	s_add_u32 m0, 0x800, s54                                   // 000000002FFC: 807C36FF 00000800
	buffer_load_dword v38, s[4:7], 0 offen lds                 // 000000003004: E0511000 80010026
	v_mfma_i32_16x16x32_i8 v[82:85], a[18:19], a[130:131], v[82:85]// 00000000300C: D3D70052 1D4B0512
	ds_read_b128 a[80:83], v42 offset:26880                    // 000000003014: DBFE6900 5000002A
	v_mfma_i32_16x16x32_i8 v[82:85], a[20:21], a[132:133], v[82:85]// 00000000301C: D3D70052 1D4B0914
	s_add_u32 m0, 0x900, s54                                   // 000000003024: 807C36FF 00000900
	buffer_load_dword v39, s[4:7], 0 offen lds                 // 00000000302C: E0511000 80010027
	v_mfma_i32_16x16x32_i8 v[82:85], a[22:23], a[134:135], v[82:85]// 000000003034: D3D70052 1D4B0D16
	ds_read_b128 a[84:87], v42 offset:26944                    // 00000000303C: DBFE6940 5400002A
	v_mfma_i32_16x16x32_i8 v[86:89], a[24:25], a[128:129], v[86:89]// 000000003044: D3D70056 1D5B0118
	v_mfma_i32_16x16x32_i8 v[86:89], a[26:27], a[130:131], v[86:89]// 00000000304C: D3D70056 1D5B051A
	v_mfma_i32_16x16x32_i8 v[86:89], a[28:29], a[132:133], v[86:89]// 000000003054: D3D70056 1D5B091C
	v_mfma_i32_16x16x32_i8 v[86:89], a[30:31], a[134:135], v[86:89]// 00000000305C: D3D70056 1D5B0D1E
	v_mfma_i32_16x16x32_i8 v[90:93], a[16:17], a[136:137], v[90:93]// 000000003064: D3D7005A 1D6B1110
	s_add_u32 m0, 0xa00, s54                                   // 00000000306C: 807C36FF 00000A00
	buffer_load_dword v40, s[4:7], 0 offen lds                 // 000000003074: E0511000 80010028
	v_mfma_i32_16x16x32_i8 v[90:93], a[18:19], a[138:139], v[90:93]// 00000000307C: D3D7005A 1D6B1512
	ds_read_b128 a[88:91], v42 offset:27392                    // 000000003084: DBFE6B00 5800002A
	v_mfma_i32_16x16x32_i8 v[90:93], a[20:21], a[140:141], v[90:93]// 00000000308C: D3D7005A 1D6B1914
	s_add_u32 m0, 0xb00, s54                                   // 000000003094: 807C36FF 00000B00
	buffer_load_dword v41, s[4:7], 0 offen lds                 // 00000000309C: E0511000 80010029
	v_mfma_i32_16x16x32_i8 v[90:93], a[22:23], a[142:143], v[90:93]// 0000000030A4: D3D7005A 1D6B1D16
	ds_read_b128 a[92:95], v42 offset:27456                    // 0000000030AC: DBFE6B40 5C00002A
	v_mfma_i32_16x16x32_i8 v[94:97], a[24:25], a[136:137], v[94:97]// 0000000030B4: D3D7005E 1D7B1118
	v_mfma_i32_16x16x32_i8 v[94:97], a[26:27], a[138:139], v[94:97]// 0000000030BC: D3D7005E 1D7B151A
	s_add_u32 s47, 0x200, s39                                  // 0000000030C4: 802F27FF 00000200
	s_cmp_lt_u32 s47, s40                                      // 0000000030CC: BF0A282F
	s_cselect_b32 s51, s51, 0                                  // 0000000030D0: 85338033
	s_add_u32 s47, 0x180, s39                                  // 0000000030D4: 802F27FF 00000180
	s_cmp_lt_u32 s47, s40                                      // 0000000030DC: BF0A282F
	s_cselect_b32 s52, s52, 0                                  // 0000000030E0: 85348034
	v_mfma_i32_16x16x32_i8 v[94:97], a[28:29], a[140:141], v[94:97]// 0000000030E4: D3D7005E 1D7B191C
	v_mfma_i32_16x16x32_i8 v[94:97], a[30:31], a[142:143], v[94:97]// 0000000030EC: D3D7005E 1D7B1D1E
	s_add_u32 s4, s51, s4                                      // 0000000030F4: 80040433
	s_addc_u32 s5, 0, s5                                       // 0000000030F8: 82050580
	s_sub_u32 s6, s6, s51                                      // 0000000030FC: 80863306
	s_add_u32 s8, s52, s8                                      // 000000003100: 80080834
	s_addc_u32 s9, 0, s9                                       // 000000003104: 82090980
	s_sub_u32 s10, s10, s52                                    // 000000003108: 808A340A
	s_addk_i32 s39, 0x80                                       // 00000000310C: B7270080
	s_cmp_lt_i32 s39, s40                                      // 000000003110: BF042827
	s_cbranch_scc0 label_074F                                  // 000000003114: BF840309
	s_waitcnt vmcnt(16) lgkmcnt(0)                             // 000000003118: BF8C4070
	s_barrier                                                  // 00000000311C: BF8A0000
	v_mfma_i32_16x16x32_i8 v[50:53], a[32:33], a[48:49], v[50:53]// 000000003120: D3D70032 1CCA6120
	s_add_u32 m0, 0, s55                                       // 000000003128: 807C3780
	buffer_load_dword v30, s[4:7], 0 offen lds                 // 00000000312C: E0511000 8001001E
	v_mfma_i32_16x16x32_i8 v[50:53], a[34:35], a[50:51], v[50:53]// 000000003134: D3D70032 1CCA6522
	ds_read_b128 a[96:99], v42                                 // 00000000313C: DBFE0000 6000002A
	v_mfma_i32_16x16x32_i8 v[50:53], a[36:37], a[52:53], v[50:53]// 000000003144: D3D70032 1CCA6924
	s_add_u32 m0, 0x100, s55                                   // 00000000314C: 807C37FF 00000100
	buffer_load_dword v31, s[4:7], 0 offen lds                 // 000000003154: E0511000 8001001F
	v_mfma_i32_16x16x32_i8 v[50:53], a[38:39], a[54:55], v[50:53]// 00000000315C: D3D70032 1CCA6D26
	ds_read_b128 a[100:103], v42 offset:64                     // 000000003164: DBFE0040 6400002A
	v_mfma_i32_16x16x32_i8 v[54:57], a[40:41], a[48:49], v[54:57]// 00000000316C: D3D70036 1CDA6128
	buffer_load_dwordx4 a[16:19], v44, s[8:11], 0 offen        // 000000003174: E05C1000 8082102C
	v_mfma_i32_16x16x32_i8 v[54:57], a[42:43], a[50:51], v[54:57]// 00000000317C: D3D70036 1CDA652A
	v_mfma_i32_16x16x32_i8 v[54:57], a[44:45], a[52:53], v[54:57]// 000000003184: D3D70036 1CDA692C
	buffer_load_dwordx4 a[20:23], v45, s[8:11], 0 offen        // 00000000318C: E05C1000 8082142D
	v_mfma_i32_16x16x32_i8 v[54:57], a[46:47], a[54:55], v[54:57]// 000000003194: D3D70036 1CDA6D2E
	v_mfma_i32_16x16x32_i8 v[58:61], a[32:33], a[56:57], v[58:61]// 00000000319C: D3D7003A 1CEA7120
	s_add_u32 m0, 0x200, s55                                   // 0000000031A4: 807C37FF 00000200
	buffer_load_dword v32, s[4:7], 0 offen lds                 // 0000000031AC: E0511000 80010020
	v_mfma_i32_16x16x32_i8 v[58:61], a[34:35], a[58:59], v[58:61]// 0000000031B4: D3D7003A 1CEA7522
	ds_read_b128 a[104:107], v42 offset:512                    // 0000000031BC: DBFE0200 6800002A
	v_mfma_i32_16x16x32_i8 v[58:61], a[36:37], a[60:61], v[58:61]// 0000000031C4: D3D7003A 1CEA7924
	s_add_u32 m0, 0x300, s55                                   // 0000000031CC: 807C37FF 00000300
	buffer_load_dword v33, s[4:7], 0 offen lds                 // 0000000031D4: E0511000 80010021
	v_mfma_i32_16x16x32_i8 v[58:61], a[38:39], a[62:63], v[58:61]// 0000000031DC: D3D7003A 1CEA7D26
	ds_read_b128 a[108:111], v42 offset:576                    // 0000000031E4: DBFE0240 6C00002A
	v_mfma_i32_16x16x32_i8 v[62:65], a[40:41], a[56:57], v[62:65]// 0000000031EC: D3D7003E 1CFA7128
	buffer_load_dwordx4 a[24:27], v46, s[8:11], 0 offen        // 0000000031F4: E05C1000 8082182E
	v_mfma_i32_16x16x32_i8 v[62:65], a[42:43], a[58:59], v[62:65]// 0000000031FC: D3D7003E 1CFA752A
	v_mfma_i32_16x16x32_i8 v[62:65], a[44:45], a[60:61], v[62:65]// 000000003204: D3D7003E 1CFA792C
	buffer_load_dwordx4 a[28:31], v47, s[8:11], 0 offen        // 00000000320C: E05C1000 80821C2F
	v_mfma_i32_16x16x32_i8 v[62:65], a[46:47], a[62:63], v[62:65]// 000000003214: D3D7003E 1CFA7D2E
	v_mfma_i32_16x16x32_i8 v[66:69], a[32:33], a[64:65], v[66:69]// 00000000321C: D3D70042 1D0A8120
	s_add_u32 m0, 0x400, s55                                   // 000000003224: 807C37FF 00000400
	buffer_load_dword v34, s[4:7], 0 offen lds                 // 00000000322C: E0511000 80010022
	v_mfma_i32_16x16x32_i8 v[66:69], a[34:35], a[66:67], v[66:69]// 000000003234: D3D70042 1D0A8522
	ds_read_b128 a[112:115], v42 offset:1024                   // 00000000323C: DBFE0400 7000002A
	v_mfma_i32_16x16x32_i8 v[66:69], a[36:37], a[68:69], v[66:69]// 000000003244: D3D70042 1D0A8924
	s_add_u32 m0, 0x500, s55                                   // 00000000324C: 807C37FF 00000500
	buffer_load_dword v35, s[4:7], 0 offen lds                 // 000000003254: E0511000 80010023
	v_mfma_i32_16x16x32_i8 v[66:69], a[38:39], a[70:71], v[66:69]// 00000000325C: D3D70042 1D0A8D26
	ds_read_b128 a[116:119], v42 offset:1088                   // 000000003264: DBFE0440 7400002A
	v_mfma_i32_16x16x32_i8 v[70:73], a[40:41], a[64:65], v[70:73]// 00000000326C: D3D70046 1D1A8128
	v_mfma_i32_16x16x32_i8 v[70:73], a[42:43], a[66:67], v[70:73]// 000000003274: D3D70046 1D1A852A
	v_mfma_i32_16x16x32_i8 v[70:73], a[44:45], a[68:69], v[70:73]// 00000000327C: D3D70046 1D1A892C
	v_mfma_i32_16x16x32_i8 v[70:73], a[46:47], a[70:71], v[70:73]// 000000003284: D3D70046 1D1A8D2E
	v_mfma_i32_16x16x32_i8 v[74:77], a[32:33], a[72:73], v[74:77]// 00000000328C: D3D7004A 1D2A9120
	s_add_u32 m0, 0x600, s55                                   // 000000003294: 807C37FF 00000600
	buffer_load_dword v36, s[4:7], 0 offen lds                 // 00000000329C: E0511000 80010024
	v_mfma_i32_16x16x32_i8 v[74:77], a[34:35], a[74:75], v[74:77]// 0000000032A4: D3D7004A 1D2A9522
	ds_read_b128 a[120:123], v42 offset:1536                   // 0000000032AC: DBFE0600 7800002A
	v_mfma_i32_16x16x32_i8 v[74:77], a[36:37], a[76:77], v[74:77]// 0000000032B4: D3D7004A 1D2A9924
	s_add_u32 m0, 0x700, s55                                   // 0000000032BC: 807C37FF 00000700
	buffer_load_dword v37, s[4:7], 0 offen lds                 // 0000000032C4: E0511000 80010025
	v_mfma_i32_16x16x32_i8 v[74:77], a[38:39], a[78:79], v[74:77]// 0000000032CC: D3D7004A 1D2A9D26
	ds_read_b128 a[124:127], v42 offset:1600                   // 0000000032D4: DBFE0640 7C00002A
	v_mfma_i32_16x16x32_i8 v[78:81], a[40:41], a[72:73], v[78:81]// 0000000032DC: D3D7004E 1D3A9128
	v_mfma_i32_16x16x32_i8 v[78:81], a[42:43], a[74:75], v[78:81]// 0000000032E4: D3D7004E 1D3A952A
	v_mfma_i32_16x16x32_i8 v[78:81], a[44:45], a[76:77], v[78:81]// 0000000032EC: D3D7004E 1D3A992C
	v_mfma_i32_16x16x32_i8 v[78:81], a[46:47], a[78:79], v[78:81]// 0000000032F4: D3D7004E 1D3A9D2E
	v_mfma_i32_16x16x32_i8 v[82:85], a[32:33], a[80:81], v[82:85]// 0000000032FC: D3D70052 1D4AA120
	s_add_u32 m0, 0x800, s55                                   // 000000003304: 807C37FF 00000800
	buffer_load_dword v38, s[4:7], 0 offen lds                 // 00000000330C: E0511000 80010026
	v_mfma_i32_16x16x32_i8 v[82:85], a[34:35], a[82:83], v[82:85]// 000000003314: D3D70052 1D4AA522
	ds_read_b128 a[128:131], v42 offset:2048                   // 00000000331C: DBFE0800 8000002A
	v_mfma_i32_16x16x32_i8 v[82:85], a[36:37], a[84:85], v[82:85]// 000000003324: D3D70052 1D4AA924
	s_add_u32 m0, 0x900, s55                                   // 00000000332C: 807C37FF 00000900
	buffer_load_dword v39, s[4:7], 0 offen lds                 // 000000003334: E0511000 80010027
	v_mfma_i32_16x16x32_i8 v[82:85], a[38:39], a[86:87], v[82:85]// 00000000333C: D3D70052 1D4AAD26
	ds_read_b128 a[132:135], v42 offset:2112                   // 000000003344: DBFE0840 8400002A
	v_mfma_i32_16x16x32_i8 v[86:89], a[40:41], a[80:81], v[86:89]// 00000000334C: D3D70056 1D5AA128
	v_mfma_i32_16x16x32_i8 v[86:89], a[42:43], a[82:83], v[86:89]// 000000003354: D3D70056 1D5AA52A
	v_mfma_i32_16x16x32_i8 v[86:89], a[44:45], a[84:85], v[86:89]// 00000000335C: D3D70056 1D5AA92C
	v_mfma_i32_16x16x32_i8 v[86:89], a[46:47], a[86:87], v[86:89]// 000000003364: D3D70056 1D5AAD2E
	v_mfma_i32_16x16x32_i8 v[90:93], a[32:33], a[88:89], v[90:93]// 00000000336C: D3D7005A 1D6AB120
	s_add_u32 m0, 0xa00, s55                                   // 000000003374: 807C37FF 00000A00
	buffer_load_dword v40, s[4:7], 0 offen lds                 // 00000000337C: E0511000 80010028
	v_mfma_i32_16x16x32_i8 v[90:93], a[34:35], a[90:91], v[90:93]// 000000003384: D3D7005A 1D6AB522
	ds_read_b128 a[136:139], v42 offset:2560                   // 00000000338C: DBFE0A00 8800002A
	v_mfma_i32_16x16x32_i8 v[90:93], a[36:37], a[92:93], v[90:93]// 000000003394: D3D7005A 1D6AB924
	s_add_u32 m0, 0xb00, s55                                   // 00000000339C: 807C37FF 00000B00
	buffer_load_dword v41, s[4:7], 0 offen lds                 // 0000000033A4: E0511000 80010029
	v_mfma_i32_16x16x32_i8 v[90:93], a[38:39], a[94:95], v[90:93]// 0000000033AC: D3D7005A 1D6ABD26
	ds_read_b128 a[140:143], v42 offset:2624                   // 0000000033B4: DBFE0A40 8C00002A
	v_mfma_i32_16x16x32_i8 v[94:97], a[40:41], a[88:89], v[94:97]// 0000000033BC: D3D7005E 1D7AB128
	v_mfma_i32_16x16x32_i8 v[94:97], a[42:43], a[90:91], v[94:97]// 0000000033C4: D3D7005E 1D7AB52A
	s_add_u32 s47, 0x200, s39                                  // 0000000033CC: 802F27FF 00000200
	s_cmp_lt_u32 s47, s40                                      // 0000000033D4: BF0A282F
	s_cselect_b32 s51, s51, 0                                  // 0000000033D8: 85338033
	s_add_u32 s47, 0x180, s39                                  // 0000000033DC: 802F27FF 00000180
	s_cmp_lt_u32 s47, s40                                      // 0000000033E4: BF0A282F
	s_cselect_b32 s52, s52, 0                                  // 0000000033E8: 85348034
	v_mfma_i32_16x16x32_i8 v[94:97], a[44:45], a[92:93], v[94:97]// 0000000033EC: D3D7005E 1D7AB92C
	v_mfma_i32_16x16x32_i8 v[94:97], a[46:47], a[94:95], v[94:97]// 0000000033F4: D3D7005E 1D7ABD2E
	s_add_u32 s4, s51, s4                                      // 0000000033FC: 80040433
	s_addc_u32 s5, 0, s5                                       // 000000003400: 82050580
	s_sub_u32 s6, s6, s51                                      // 000000003404: 80863306
	s_add_u32 s8, s52, s8                                      // 000000003408: 80080834
	s_addc_u32 s9, 0, s9                                       // 00000000340C: 82090980
	s_sub_u32 s10, s10, s52                                    // 000000003410: 808A340A
	s_addk_i32 s39, 0x80                                       // 000000003414: B7270080
	s_cmp_lt_i32 s39, s40                                      // 000000003418: BF042827
	s_cbranch_scc0 label_074F                                  // 00000000341C: BF840247
	s_waitcnt vmcnt(16) lgkmcnt(0)                             // 000000003420: BF8C4070
	s_barrier                                                  // 000000003424: BF8A0000
	v_mfma_i32_16x16x32_i8 v[50:53], a[0:1], a[96:97], v[50:53]// 000000003428: D3D70032 1CCAC100
	s_add_u32 m0, 0, s53                                       // 000000003430: 807C3580
	buffer_load_dword v30, s[4:7], 0 offen lds                 // 000000003434: E0511000 8001001E
	v_mfma_i32_16x16x32_i8 v[50:53], a[2:3], a[98:99], v[50:53]// 00000000343C: D3D70032 1CCAC502
	ds_read_b128 a[48:51], v42 offset:12416                    // 000000003444: DBFE3080 3000002A
	v_mfma_i32_16x16x32_i8 v[50:53], a[4:5], a[100:101], v[50:53]// 00000000344C: D3D70032 1CCAC904
	s_add_u32 m0, 0x100, s53                                   // 000000003454: 807C35FF 00000100
	buffer_load_dword v31, s[4:7], 0 offen lds                 // 00000000345C: E0511000 8001001F
	v_mfma_i32_16x16x32_i8 v[50:53], a[6:7], a[102:103], v[50:53]// 000000003464: D3D70032 1CCACD06
	ds_read_b128 a[52:55], v42 offset:12480                    // 00000000346C: DBFE30C0 3400002A
	v_mfma_i32_16x16x32_i8 v[54:57], a[8:9], a[96:97], v[54:57]// 000000003474: D3D70036 1CDAC108
	buffer_load_dwordx4 a[32:35], v44, s[8:11], 0 offen        // 00000000347C: E05C1000 8082202C
	v_mfma_i32_16x16x32_i8 v[54:57], a[10:11], a[98:99], v[54:57]// 000000003484: D3D70036 1CDAC50A
	v_mfma_i32_16x16x32_i8 v[54:57], a[12:13], a[100:101], v[54:57]// 00000000348C: D3D70036 1CDAC90C
	buffer_load_dwordx4 a[36:39], v45, s[8:11], 0 offen        // 000000003494: E05C1000 8082242D
	v_mfma_i32_16x16x32_i8 v[54:57], a[14:15], a[102:103], v[54:57]// 00000000349C: D3D70036 1CDACD0E
	v_mfma_i32_16x16x32_i8 v[58:61], a[0:1], a[104:105], v[58:61]// 0000000034A4: D3D7003A 1CEAD100
	s_add_u32 m0, 0x200, s53                                   // 0000000034AC: 807C35FF 00000200
	buffer_load_dword v32, s[4:7], 0 offen lds                 // 0000000034B4: E0511000 80010020
	v_mfma_i32_16x16x32_i8 v[58:61], a[2:3], a[106:107], v[58:61]// 0000000034BC: D3D7003A 1CEAD502
	ds_read_b128 a[56:59], v42 offset:12928                    // 0000000034C4: DBFE3280 3800002A
	v_mfma_i32_16x16x32_i8 v[58:61], a[4:5], a[108:109], v[58:61]// 0000000034CC: D3D7003A 1CEAD904
	s_add_u32 m0, 0x300, s53                                   // 0000000034D4: 807C35FF 00000300
	buffer_load_dword v33, s[4:7], 0 offen lds                 // 0000000034DC: E0511000 80010021
	v_mfma_i32_16x16x32_i8 v[58:61], a[6:7], a[110:111], v[58:61]// 0000000034E4: D3D7003A 1CEADD06
	ds_read_b128 a[60:63], v42 offset:12992                    // 0000000034EC: DBFE32C0 3C00002A
	v_mfma_i32_16x16x32_i8 v[62:65], a[8:9], a[104:105], v[62:65]// 0000000034F4: D3D7003E 1CFAD108
	buffer_load_dwordx4 a[40:43], v46, s[8:11], 0 offen        // 0000000034FC: E05C1000 8082282E
	v_mfma_i32_16x16x32_i8 v[62:65], a[10:11], a[106:107], v[62:65]// 000000003504: D3D7003E 1CFAD50A
	v_mfma_i32_16x16x32_i8 v[62:65], a[12:13], a[108:109], v[62:65]// 00000000350C: D3D7003E 1CFAD90C
	buffer_load_dwordx4 a[44:47], v47, s[8:11], 0 offen        // 000000003514: E05C1000 80822C2F
	v_mfma_i32_16x16x32_i8 v[62:65], a[14:15], a[110:111], v[62:65]// 00000000351C: D3D7003E 1CFADD0E
	v_mfma_i32_16x16x32_i8 v[66:69], a[0:1], a[112:113], v[66:69]// 000000003524: D3D70042 1D0AE100
	s_add_u32 m0, 0x400, s53                                   // 00000000352C: 807C35FF 00000400
	buffer_load_dword v34, s[4:7], 0 offen lds                 // 000000003534: E0511000 80010022
	v_mfma_i32_16x16x32_i8 v[66:69], a[2:3], a[114:115], v[66:69]// 00000000353C: D3D70042 1D0AE502
	ds_read_b128 a[64:67], v42 offset:13440                    // 000000003544: DBFE3480 4000002A
	v_mfma_i32_16x16x32_i8 v[66:69], a[4:5], a[116:117], v[66:69]// 00000000354C: D3D70042 1D0AE904
	s_add_u32 m0, 0x500, s53                                   // 000000003554: 807C35FF 00000500
	buffer_load_dword v35, s[4:7], 0 offen lds                 // 00000000355C: E0511000 80010023
	v_mfma_i32_16x16x32_i8 v[66:69], a[6:7], a[118:119], v[66:69]// 000000003564: D3D70042 1D0AED06
	ds_read_b128 a[68:71], v42 offset:13504                    // 00000000356C: DBFE34C0 4400002A
	v_mfma_i32_16x16x32_i8 v[70:73], a[8:9], a[112:113], v[70:73]// 000000003574: D3D70046 1D1AE108
	v_mfma_i32_16x16x32_i8 v[70:73], a[10:11], a[114:115], v[70:73]// 00000000357C: D3D70046 1D1AE50A
	v_mfma_i32_16x16x32_i8 v[70:73], a[12:13], a[116:117], v[70:73]// 000000003584: D3D70046 1D1AE90C
	v_mfma_i32_16x16x32_i8 v[70:73], a[14:15], a[118:119], v[70:73]// 00000000358C: D3D70046 1D1AED0E
	v_mfma_i32_16x16x32_i8 v[74:77], a[0:1], a[120:121], v[74:77]// 000000003594: D3D7004A 1D2AF100
	s_add_u32 m0, 0x600, s53                                   // 00000000359C: 807C35FF 00000600
	buffer_load_dword v36, s[4:7], 0 offen lds                 // 0000000035A4: E0511000 80010024
	v_mfma_i32_16x16x32_i8 v[74:77], a[2:3], a[122:123], v[74:77]// 0000000035AC: D3D7004A 1D2AF502
	ds_read_b128 a[72:75], v42 offset:13952                    // 0000000035B4: DBFE3680 4800002A
	v_mfma_i32_16x16x32_i8 v[74:77], a[4:5], a[124:125], v[74:77]// 0000000035BC: D3D7004A 1D2AF904
	s_add_u32 m0, 0x700, s53                                   // 0000000035C4: 807C35FF 00000700
	buffer_load_dword v37, s[4:7], 0 offen lds                 // 0000000035CC: E0511000 80010025
	v_mfma_i32_16x16x32_i8 v[74:77], a[6:7], a[126:127], v[74:77]// 0000000035D4: D3D7004A 1D2AFD06
	ds_read_b128 a[76:79], v42 offset:14016                    // 0000000035DC: DBFE36C0 4C00002A
	v_mfma_i32_16x16x32_i8 v[78:81], a[8:9], a[120:121], v[78:81]// 0000000035E4: D3D7004E 1D3AF108
	v_mfma_i32_16x16x32_i8 v[78:81], a[10:11], a[122:123], v[78:81]// 0000000035EC: D3D7004E 1D3AF50A
	v_mfma_i32_16x16x32_i8 v[78:81], a[12:13], a[124:125], v[78:81]// 0000000035F4: D3D7004E 1D3AF90C
	v_mfma_i32_16x16x32_i8 v[78:81], a[14:15], a[126:127], v[78:81]// 0000000035FC: D3D7004E 1D3AFD0E
	v_mfma_i32_16x16x32_i8 v[82:85], a[0:1], a[128:129], v[82:85]// 000000003604: D3D70052 1D4B0100
	s_add_u32 m0, 0x800, s53                                   // 00000000360C: 807C35FF 00000800
	buffer_load_dword v38, s[4:7], 0 offen lds                 // 000000003614: E0511000 80010026
	v_mfma_i32_16x16x32_i8 v[82:85], a[2:3], a[130:131], v[82:85]// 00000000361C: D3D70052 1D4B0502
	ds_read_b128 a[80:83], v42 offset:14464                    // 000000003624: DBFE3880 5000002A
	v_mfma_i32_16x16x32_i8 v[82:85], a[4:5], a[132:133], v[82:85]// 00000000362C: D3D70052 1D4B0904
	s_add_u32 m0, 0x900, s53                                   // 000000003634: 807C35FF 00000900
	buffer_load_dword v39, s[4:7], 0 offen lds                 // 00000000363C: E0511000 80010027
	v_mfma_i32_16x16x32_i8 v[82:85], a[6:7], a[134:135], v[82:85]// 000000003644: D3D70052 1D4B0D06
	ds_read_b128 a[84:87], v42 offset:14528                    // 00000000364C: DBFE38C0 5400002A
	v_mfma_i32_16x16x32_i8 v[86:89], a[8:9], a[128:129], v[86:89]// 000000003654: D3D70056 1D5B0108
	v_mfma_i32_16x16x32_i8 v[86:89], a[10:11], a[130:131], v[86:89]// 00000000365C: D3D70056 1D5B050A
	v_mfma_i32_16x16x32_i8 v[86:89], a[12:13], a[132:133], v[86:89]// 000000003664: D3D70056 1D5B090C
	v_mfma_i32_16x16x32_i8 v[86:89], a[14:15], a[134:135], v[86:89]// 00000000366C: D3D70056 1D5B0D0E
	v_mfma_i32_16x16x32_i8 v[90:93], a[0:1], a[136:137], v[90:93]// 000000003674: D3D7005A 1D6B1100
	s_add_u32 m0, 0xa00, s53                                   // 00000000367C: 807C35FF 00000A00
	buffer_load_dword v40, s[4:7], 0 offen lds                 // 000000003684: E0511000 80010028
	v_mfma_i32_16x16x32_i8 v[90:93], a[2:3], a[138:139], v[90:93]// 00000000368C: D3D7005A 1D6B1502
	ds_read_b128 a[88:91], v42 offset:14976                    // 000000003694: DBFE3A80 5800002A
	v_mfma_i32_16x16x32_i8 v[90:93], a[4:5], a[140:141], v[90:93]// 00000000369C: D3D7005A 1D6B1904
	s_add_u32 m0, 0xb00, s53                                   // 0000000036A4: 807C35FF 00000B00
	buffer_load_dword v41, s[4:7], 0 offen lds                 // 0000000036AC: E0511000 80010029
	v_mfma_i32_16x16x32_i8 v[90:93], a[6:7], a[142:143], v[90:93]// 0000000036B4: D3D7005A 1D6B1D06
	ds_read_b128 a[92:95], v42 offset:15040                    // 0000000036BC: DBFE3AC0 5C00002A
	v_mfma_i32_16x16x32_i8 v[94:97], a[8:9], a[136:137], v[94:97]// 0000000036C4: D3D7005E 1D7B1108
	v_mfma_i32_16x16x32_i8 v[94:97], a[10:11], a[138:139], v[94:97]// 0000000036CC: D3D7005E 1D7B150A
	s_add_u32 s47, 0x200, s39                                  // 0000000036D4: 802F27FF 00000200
	s_cmp_lt_u32 s47, s40                                      // 0000000036DC: BF0A282F
	s_cselect_b32 s51, s51, 0                                  // 0000000036E0: 85338033
	s_add_u32 s47, 0x180, s39                                  // 0000000036E4: 802F27FF 00000180
	s_cmp_lt_u32 s47, s40                                      // 0000000036EC: BF0A282F
	s_cselect_b32 s52, s52, 0                                  // 0000000036F0: 85348034
	v_mfma_i32_16x16x32_i8 v[94:97], a[12:13], a[140:141], v[94:97]// 0000000036F4: D3D7005E 1D7B190C
	v_mfma_i32_16x16x32_i8 v[94:97], a[14:15], a[142:143], v[94:97]// 0000000036FC: D3D7005E 1D7B1D0E
	s_add_u32 s4, s51, s4                                      // 000000003704: 80040433
	s_addc_u32 s5, 0, s5                                       // 000000003708: 82050580
	s_sub_u32 s6, s6, s51                                      // 00000000370C: 80863306
	s_add_u32 s8, s52, s8                                      // 000000003710: 80080834
	s_addc_u32 s9, 0, s9                                       // 000000003714: 82090980
	s_sub_u32 s10, s10, s52                                    // 000000003718: 808A340A
	s_addk_i32 s39, 0x80                                       // 00000000371C: B7270080
	s_cmp_lt_i32 s39, s40                                      // 000000003720: BF042827
	s_cbranch_scc0 label_074F                                  // 000000003724: BF840185
	s_waitcnt vmcnt(16) lgkmcnt(0)                             // 000000003728: BF8C4070
	s_barrier                                                  // 00000000372C: BF8A0000
	v_mfma_i32_16x16x32_i8 v[50:53], a[16:17], a[48:49], v[50:53]// 000000003730: D3D70032 1CCA6110
	s_add_u32 m0, 0, s54                                       // 000000003738: 807C3680
	buffer_load_dword v30, s[4:7], 0 offen lds                 // 00000000373C: E0511000 8001001E
	v_mfma_i32_16x16x32_i8 v[50:53], a[18:19], a[50:51], v[50:53]// 000000003744: D3D70032 1CCA6512
	ds_read_b128 a[96:99], v42 offset:24832                    // 00000000374C: DBFE6100 6000002A
	v_mfma_i32_16x16x32_i8 v[50:53], a[20:21], a[52:53], v[50:53]// 000000003754: D3D70032 1CCA6914
	s_add_u32 m0, 0x100, s54                                   // 00000000375C: 807C36FF 00000100
	buffer_load_dword v31, s[4:7], 0 offen lds                 // 000000003764: E0511000 8001001F
	v_mfma_i32_16x16x32_i8 v[50:53], a[22:23], a[54:55], v[50:53]// 00000000376C: D3D70032 1CCA6D16
	ds_read_b128 a[100:103], v42 offset:24896                  // 000000003774: DBFE6140 6400002A
	v_mfma_i32_16x16x32_i8 v[54:57], a[24:25], a[48:49], v[54:57]// 00000000377C: D3D70036 1CDA6118
	buffer_load_dwordx4 a[0:3], v44, s[8:11], 0 offen          // 000000003784: E05C1000 8082002C
	v_mfma_i32_16x16x32_i8 v[54:57], a[26:27], a[50:51], v[54:57]// 00000000378C: D3D70036 1CDA651A
	v_mfma_i32_16x16x32_i8 v[54:57], a[28:29], a[52:53], v[54:57]// 000000003794: D3D70036 1CDA691C
	buffer_load_dwordx4 a[4:7], v45, s[8:11], 0 offen          // 00000000379C: E05C1000 8082042D
	v_mfma_i32_16x16x32_i8 v[54:57], a[30:31], a[54:55], v[54:57]// 0000000037A4: D3D70036 1CDA6D1E
	v_mfma_i32_16x16x32_i8 v[58:61], a[16:17], a[56:57], v[58:61]// 0000000037AC: D3D7003A 1CEA7110
	s_add_u32 m0, 0x200, s54                                   // 0000000037B4: 807C36FF 00000200
	buffer_load_dword v32, s[4:7], 0 offen lds                 // 0000000037BC: E0511000 80010020
	v_mfma_i32_16x16x32_i8 v[58:61], a[18:19], a[58:59], v[58:61]// 0000000037C4: D3D7003A 1CEA7512
	ds_read_b128 a[104:107], v42 offset:25344                  // 0000000037CC: DBFE6300 6800002A
	v_mfma_i32_16x16x32_i8 v[58:61], a[20:21], a[60:61], v[58:61]// 0000000037D4: D3D7003A 1CEA7914
	s_add_u32 m0, 0x300, s54                                   // 0000000037DC: 807C36FF 00000300
	buffer_load_dword v33, s[4:7], 0 offen lds                 // 0000000037E4: E0511000 80010021
	v_mfma_i32_16x16x32_i8 v[58:61], a[22:23], a[62:63], v[58:61]// 0000000037EC: D3D7003A 1CEA7D16
	ds_read_b128 a[108:111], v42 offset:25408                  // 0000000037F4: DBFE6340 6C00002A
	v_mfma_i32_16x16x32_i8 v[62:65], a[24:25], a[56:57], v[62:65]// 0000000037FC: D3D7003E 1CFA7118
	buffer_load_dwordx4 a[8:11], v46, s[8:11], 0 offen         // 000000003804: E05C1000 8082082E
	v_mfma_i32_16x16x32_i8 v[62:65], a[26:27], a[58:59], v[62:65]// 00000000380C: D3D7003E 1CFA751A
	v_mfma_i32_16x16x32_i8 v[62:65], a[28:29], a[60:61], v[62:65]// 000000003814: D3D7003E 1CFA791C
	buffer_load_dwordx4 a[12:15], v47, s[8:11], 0 offen        // 00000000381C: E05C1000 80820C2F
	v_mfma_i32_16x16x32_i8 v[62:65], a[30:31], a[62:63], v[62:65]// 000000003824: D3D7003E 1CFA7D1E
	v_mfma_i32_16x16x32_i8 v[66:69], a[16:17], a[64:65], v[66:69]// 00000000382C: D3D70042 1D0A8110
	s_add_u32 m0, 0x400, s54                                   // 000000003834: 807C36FF 00000400
	buffer_load_dword v34, s[4:7], 0 offen lds                 // 00000000383C: E0511000 80010022
	v_mfma_i32_16x16x32_i8 v[66:69], a[18:19], a[66:67], v[66:69]// 000000003844: D3D70042 1D0A8512
	ds_read_b128 a[112:115], v42 offset:25856                  // 00000000384C: DBFE6500 7000002A
	v_mfma_i32_16x16x32_i8 v[66:69], a[20:21], a[68:69], v[66:69]// 000000003854: D3D70042 1D0A8914
	s_add_u32 m0, 0x500, s54                                   // 00000000385C: 807C36FF 00000500
	buffer_load_dword v35, s[4:7], 0 offen lds                 // 000000003864: E0511000 80010023
	v_mfma_i32_16x16x32_i8 v[66:69], a[22:23], a[70:71], v[66:69]// 00000000386C: D3D70042 1D0A8D16
	ds_read_b128 a[116:119], v42 offset:25920                  // 000000003874: DBFE6540 7400002A
	v_mfma_i32_16x16x32_i8 v[70:73], a[24:25], a[64:65], v[70:73]// 00000000387C: D3D70046 1D1A8118
	v_mfma_i32_16x16x32_i8 v[70:73], a[26:27], a[66:67], v[70:73]// 000000003884: D3D70046 1D1A851A
	v_mfma_i32_16x16x32_i8 v[70:73], a[28:29], a[68:69], v[70:73]// 00000000388C: D3D70046 1D1A891C
	v_mfma_i32_16x16x32_i8 v[70:73], a[30:31], a[70:71], v[70:73]// 000000003894: D3D70046 1D1A8D1E
	v_mfma_i32_16x16x32_i8 v[74:77], a[16:17], a[72:73], v[74:77]// 00000000389C: D3D7004A 1D2A9110
	s_add_u32 m0, 0x600, s54                                   // 0000000038A4: 807C36FF 00000600
	buffer_load_dword v36, s[4:7], 0 offen lds                 // 0000000038AC: E0511000 80010024
	v_mfma_i32_16x16x32_i8 v[74:77], a[18:19], a[74:75], v[74:77]// 0000000038B4: D3D7004A 1D2A9512
	ds_read_b128 a[120:123], v42 offset:26368                  // 0000000038BC: DBFE6700 7800002A
	v_mfma_i32_16x16x32_i8 v[74:77], a[20:21], a[76:77], v[74:77]// 0000000038C4: D3D7004A 1D2A9914
	s_add_u32 m0, 0x700, s54                                   // 0000000038CC: 807C36FF 00000700
	buffer_load_dword v37, s[4:7], 0 offen lds                 // 0000000038D4: E0511000 80010025
	v_mfma_i32_16x16x32_i8 v[74:77], a[22:23], a[78:79], v[74:77]// 0000000038DC: D3D7004A 1D2A9D16
	ds_read_b128 a[124:127], v42 offset:26432                  // 0000000038E4: DBFE6740 7C00002A
	v_mfma_i32_16x16x32_i8 v[78:81], a[24:25], a[72:73], v[78:81]// 0000000038EC: D3D7004E 1D3A9118
	v_mfma_i32_16x16x32_i8 v[78:81], a[26:27], a[74:75], v[78:81]// 0000000038F4: D3D7004E 1D3A951A
	v_mfma_i32_16x16x32_i8 v[78:81], a[28:29], a[76:77], v[78:81]// 0000000038FC: D3D7004E 1D3A991C
	v_mfma_i32_16x16x32_i8 v[78:81], a[30:31], a[78:79], v[78:81]// 000000003904: D3D7004E 1D3A9D1E
	v_mfma_i32_16x16x32_i8 v[82:85], a[16:17], a[80:81], v[82:85]// 00000000390C: D3D70052 1D4AA110
	s_add_u32 m0, 0x800, s54                                   // 000000003914: 807C36FF 00000800
	buffer_load_dword v38, s[4:7], 0 offen lds                 // 00000000391C: E0511000 80010026
	v_mfma_i32_16x16x32_i8 v[82:85], a[18:19], a[82:83], v[82:85]// 000000003924: D3D70052 1D4AA512
	ds_read_b128 a[128:131], v42 offset:26880                  // 00000000392C: DBFE6900 8000002A
	v_mfma_i32_16x16x32_i8 v[82:85], a[20:21], a[84:85], v[82:85]// 000000003934: D3D70052 1D4AA914
	s_add_u32 m0, 0x900, s54                                   // 00000000393C: 807C36FF 00000900
	buffer_load_dword v39, s[4:7], 0 offen lds                 // 000000003944: E0511000 80010027
	v_mfma_i32_16x16x32_i8 v[82:85], a[22:23], a[86:87], v[82:85]// 00000000394C: D3D70052 1D4AAD16
	ds_read_b128 a[132:135], v42 offset:26944                  // 000000003954: DBFE6940 8400002A
	v_mfma_i32_16x16x32_i8 v[86:89], a[24:25], a[80:81], v[86:89]// 00000000395C: D3D70056 1D5AA118
	v_mfma_i32_16x16x32_i8 v[86:89], a[26:27], a[82:83], v[86:89]// 000000003964: D3D70056 1D5AA51A
	v_mfma_i32_16x16x32_i8 v[86:89], a[28:29], a[84:85], v[86:89]// 00000000396C: D3D70056 1D5AA91C
	v_mfma_i32_16x16x32_i8 v[86:89], a[30:31], a[86:87], v[86:89]// 000000003974: D3D70056 1D5AAD1E
	v_mfma_i32_16x16x32_i8 v[90:93], a[16:17], a[88:89], v[90:93]// 00000000397C: D3D7005A 1D6AB110
	s_add_u32 m0, 0xa00, s54                                   // 000000003984: 807C36FF 00000A00
	buffer_load_dword v40, s[4:7], 0 offen lds                 // 00000000398C: E0511000 80010028
	v_mfma_i32_16x16x32_i8 v[90:93], a[18:19], a[90:91], v[90:93]// 000000003994: D3D7005A 1D6AB512
	ds_read_b128 a[136:139], v42 offset:27392                  // 00000000399C: DBFE6B00 8800002A
	v_mfma_i32_16x16x32_i8 v[90:93], a[20:21], a[92:93], v[90:93]// 0000000039A4: D3D7005A 1D6AB914
	s_add_u32 m0, 0xb00, s54                                   // 0000000039AC: 807C36FF 00000B00
	buffer_load_dword v41, s[4:7], 0 offen lds                 // 0000000039B4: E0511000 80010029
	v_mfma_i32_16x16x32_i8 v[90:93], a[22:23], a[94:95], v[90:93]// 0000000039BC: D3D7005A 1D6ABD16
	ds_read_b128 a[140:143], v42 offset:27456                  // 0000000039C4: DBFE6B40 8C00002A
	v_mfma_i32_16x16x32_i8 v[94:97], a[24:25], a[88:89], v[94:97]// 0000000039CC: D3D7005E 1D7AB118
	v_mfma_i32_16x16x32_i8 v[94:97], a[26:27], a[90:91], v[94:97]// 0000000039D4: D3D7005E 1D7AB51A
	s_add_u32 s47, 0x200, s39                                  // 0000000039DC: 802F27FF 00000200
	s_cmp_lt_u32 s47, s40                                      // 0000000039E4: BF0A282F
	s_cselect_b32 s51, s51, 0                                  // 0000000039E8: 85338033
	s_add_u32 s47, 0x180, s39                                  // 0000000039EC: 802F27FF 00000180
	s_cmp_lt_u32 s47, s40                                      // 0000000039F4: BF0A282F
	s_cselect_b32 s52, s52, 0                                  // 0000000039F8: 85348034
	v_mfma_i32_16x16x32_i8 v[94:97], a[28:29], a[92:93], v[94:97]// 0000000039FC: D3D7005E 1D7AB91C
	v_mfma_i32_16x16x32_i8 v[94:97], a[30:31], a[94:95], v[94:97]// 000000003A04: D3D7005E 1D7ABD1E
	s_add_u32 s4, s51, s4                                      // 000000003A0C: 80040433
	s_addc_u32 s5, 0, s5                                       // 000000003A10: 82050580
	s_sub_u32 s6, s6, s51                                      // 000000003A14: 80863306
	s_add_u32 s8, s52, s8                                      // 000000003A18: 80080834
	s_addc_u32 s9, 0, s9                                       // 000000003A1C: 82090980
	s_sub_u32 s10, s10, s52                                    // 000000003A20: 808A340A
	s_addk_i32 s39, 0x80                                       // 000000003A24: B7270080
	s_cmp_lt_i32 s39, s40                                      // 000000003A28: BF042827
	s_cbranch_scc0 label_074F                                  // 000000003A2C: BF8400C3
	s_waitcnt vmcnt(16) lgkmcnt(0)                             // 000000003A30: BF8C4070
	s_barrier                                                  // 000000003A34: BF8A0000
	v_mfma_i32_16x16x32_i8 v[50:53], a[32:33], a[96:97], v[50:53]// 000000003A38: D3D70032 1CCAC120
	s_add_u32 m0, 0, s55                                       // 000000003A40: 807C3780
	buffer_load_dword v30, s[4:7], 0 offen lds                 // 000000003A44: E0511000 8001001E
	v_mfma_i32_16x16x32_i8 v[50:53], a[34:35], a[98:99], v[50:53]// 000000003A4C: D3D70032 1CCAC522
	ds_read_b128 a[48:51], v42                                 // 000000003A54: DBFE0000 3000002A
	v_mfma_i32_16x16x32_i8 v[50:53], a[36:37], a[100:101], v[50:53]// 000000003A5C: D3D70032 1CCAC924
	s_add_u32 m0, 0x100, s55                                   // 000000003A64: 807C37FF 00000100
	buffer_load_dword v31, s[4:7], 0 offen lds                 // 000000003A6C: E0511000 8001001F
	v_mfma_i32_16x16x32_i8 v[50:53], a[38:39], a[102:103], v[50:53]// 000000003A74: D3D70032 1CCACD26
	ds_read_b128 a[52:55], v42 offset:64                       // 000000003A7C: DBFE0040 3400002A
	v_mfma_i32_16x16x32_i8 v[54:57], a[40:41], a[96:97], v[54:57]// 000000003A84: D3D70036 1CDAC128
	buffer_load_dwordx4 a[16:19], v44, s[8:11], 0 offen        // 000000003A8C: E05C1000 8082102C
	v_mfma_i32_16x16x32_i8 v[54:57], a[42:43], a[98:99], v[54:57]// 000000003A94: D3D70036 1CDAC52A
	v_mfma_i32_16x16x32_i8 v[54:57], a[44:45], a[100:101], v[54:57]// 000000003A9C: D3D70036 1CDAC92C
	buffer_load_dwordx4 a[20:23], v45, s[8:11], 0 offen        // 000000003AA4: E05C1000 8082142D
	v_mfma_i32_16x16x32_i8 v[54:57], a[46:47], a[102:103], v[54:57]// 000000003AAC: D3D70036 1CDACD2E
	v_mfma_i32_16x16x32_i8 v[58:61], a[32:33], a[104:105], v[58:61]// 000000003AB4: D3D7003A 1CEAD120
	s_add_u32 m0, 0x200, s55                                   // 000000003ABC: 807C37FF 00000200
	buffer_load_dword v32, s[4:7], 0 offen lds                 // 000000003AC4: E0511000 80010020
	v_mfma_i32_16x16x32_i8 v[58:61], a[34:35], a[106:107], v[58:61]// 000000003ACC: D3D7003A 1CEAD522
	ds_read_b128 a[56:59], v42 offset:512                      // 000000003AD4: DBFE0200 3800002A
	v_mfma_i32_16x16x32_i8 v[58:61], a[36:37], a[108:109], v[58:61]// 000000003ADC: D3D7003A 1CEAD924
	s_add_u32 m0, 0x300, s55                                   // 000000003AE4: 807C37FF 00000300
	buffer_load_dword v33, s[4:7], 0 offen lds                 // 000000003AEC: E0511000 80010021
	v_mfma_i32_16x16x32_i8 v[58:61], a[38:39], a[110:111], v[58:61]// 000000003AF4: D3D7003A 1CEADD26
	ds_read_b128 a[60:63], v42 offset:576                      // 000000003AFC: DBFE0240 3C00002A
	v_mfma_i32_16x16x32_i8 v[62:65], a[40:41], a[104:105], v[62:65]// 000000003B04: D3D7003E 1CFAD128
	buffer_load_dwordx4 a[24:27], v46, s[8:11], 0 offen        // 000000003B0C: E05C1000 8082182E
	v_mfma_i32_16x16x32_i8 v[62:65], a[42:43], a[106:107], v[62:65]// 000000003B14: D3D7003E 1CFAD52A
	v_mfma_i32_16x16x32_i8 v[62:65], a[44:45], a[108:109], v[62:65]// 000000003B1C: D3D7003E 1CFAD92C
	buffer_load_dwordx4 a[28:31], v47, s[8:11], 0 offen        // 000000003B24: E05C1000 80821C2F
	v_mfma_i32_16x16x32_i8 v[62:65], a[46:47], a[110:111], v[62:65]// 000000003B2C: D3D7003E 1CFADD2E
	v_mfma_i32_16x16x32_i8 v[66:69], a[32:33], a[112:113], v[66:69]// 000000003B34: D3D70042 1D0AE120
	s_add_u32 m0, 0x400, s55                                   // 000000003B3C: 807C37FF 00000400
	buffer_load_dword v34, s[4:7], 0 offen lds                 // 000000003B44: E0511000 80010022
	v_mfma_i32_16x16x32_i8 v[66:69], a[34:35], a[114:115], v[66:69]// 000000003B4C: D3D70042 1D0AE522
	ds_read_b128 a[64:67], v42 offset:1024                     // 000000003B54: DBFE0400 4000002A
	v_mfma_i32_16x16x32_i8 v[66:69], a[36:37], a[116:117], v[66:69]// 000000003B5C: D3D70042 1D0AE924
	s_add_u32 m0, 0x500, s55                                   // 000000003B64: 807C37FF 00000500
	buffer_load_dword v35, s[4:7], 0 offen lds                 // 000000003B6C: E0511000 80010023
	v_mfma_i32_16x16x32_i8 v[66:69], a[38:39], a[118:119], v[66:69]// 000000003B74: D3D70042 1D0AED26
	ds_read_b128 a[68:71], v42 offset:1088                     // 000000003B7C: DBFE0440 4400002A
	v_mfma_i32_16x16x32_i8 v[70:73], a[40:41], a[112:113], v[70:73]// 000000003B84: D3D70046 1D1AE128
	v_mfma_i32_16x16x32_i8 v[70:73], a[42:43], a[114:115], v[70:73]// 000000003B8C: D3D70046 1D1AE52A
	v_mfma_i32_16x16x32_i8 v[70:73], a[44:45], a[116:117], v[70:73]// 000000003B94: D3D70046 1D1AE92C
	v_mfma_i32_16x16x32_i8 v[70:73], a[46:47], a[118:119], v[70:73]// 000000003B9C: D3D70046 1D1AED2E
	v_mfma_i32_16x16x32_i8 v[74:77], a[32:33], a[120:121], v[74:77]// 000000003BA4: D3D7004A 1D2AF120
	s_add_u32 m0, 0x600, s55                                   // 000000003BAC: 807C37FF 00000600
	buffer_load_dword v36, s[4:7], 0 offen lds                 // 000000003BB4: E0511000 80010024
	v_mfma_i32_16x16x32_i8 v[74:77], a[34:35], a[122:123], v[74:77]// 000000003BBC: D3D7004A 1D2AF522
	ds_read_b128 a[72:75], v42 offset:1536                     // 000000003BC4: DBFE0600 4800002A
	v_mfma_i32_16x16x32_i8 v[74:77], a[36:37], a[124:125], v[74:77]// 000000003BCC: D3D7004A 1D2AF924
	s_add_u32 m0, 0x700, s55                                   // 000000003BD4: 807C37FF 00000700
	buffer_load_dword v37, s[4:7], 0 offen lds                 // 000000003BDC: E0511000 80010025
	v_mfma_i32_16x16x32_i8 v[74:77], a[38:39], a[126:127], v[74:77]// 000000003BE4: D3D7004A 1D2AFD26
	ds_read_b128 a[76:79], v42 offset:1600                     // 000000003BEC: DBFE0640 4C00002A
	v_mfma_i32_16x16x32_i8 v[78:81], a[40:41], a[120:121], v[78:81]// 000000003BF4: D3D7004E 1D3AF128
	v_mfma_i32_16x16x32_i8 v[78:81], a[42:43], a[122:123], v[78:81]// 000000003BFC: D3D7004E 1D3AF52A
	v_mfma_i32_16x16x32_i8 v[78:81], a[44:45], a[124:125], v[78:81]// 000000003C04: D3D7004E 1D3AF92C
	v_mfma_i32_16x16x32_i8 v[78:81], a[46:47], a[126:127], v[78:81]// 000000003C0C: D3D7004E 1D3AFD2E
	v_mfma_i32_16x16x32_i8 v[82:85], a[32:33], a[128:129], v[82:85]// 000000003C14: D3D70052 1D4B0120
	s_add_u32 m0, 0x800, s55                                   // 000000003C1C: 807C37FF 00000800
	buffer_load_dword v38, s[4:7], 0 offen lds                 // 000000003C24: E0511000 80010026
	v_mfma_i32_16x16x32_i8 v[82:85], a[34:35], a[130:131], v[82:85]// 000000003C2C: D3D70052 1D4B0522
	ds_read_b128 a[80:83], v42 offset:2048                     // 000000003C34: DBFE0800 5000002A
	v_mfma_i32_16x16x32_i8 v[82:85], a[36:37], a[132:133], v[82:85]// 000000003C3C: D3D70052 1D4B0924
	s_add_u32 m0, 0x900, s55                                   // 000000003C44: 807C37FF 00000900
	buffer_load_dword v39, s[4:7], 0 offen lds                 // 000000003C4C: E0511000 80010027
	v_mfma_i32_16x16x32_i8 v[82:85], a[38:39], a[134:135], v[82:85]// 000000003C54: D3D70052 1D4B0D26
	ds_read_b128 a[84:87], v42 offset:2112                     // 000000003C5C: DBFE0840 5400002A
	v_mfma_i32_16x16x32_i8 v[86:89], a[40:41], a[128:129], v[86:89]// 000000003C64: D3D70056 1D5B0128
	v_mfma_i32_16x16x32_i8 v[86:89], a[42:43], a[130:131], v[86:89]// 000000003C6C: D3D70056 1D5B052A
	v_mfma_i32_16x16x32_i8 v[86:89], a[44:45], a[132:133], v[86:89]// 000000003C74: D3D70056 1D5B092C
	v_mfma_i32_16x16x32_i8 v[86:89], a[46:47], a[134:135], v[86:89]// 000000003C7C: D3D70056 1D5B0D2E
	v_mfma_i32_16x16x32_i8 v[90:93], a[32:33], a[136:137], v[90:93]// 000000003C84: D3D7005A 1D6B1120
	s_add_u32 m0, 0xa00, s55                                   // 000000003C8C: 807C37FF 00000A00
	buffer_load_dword v40, s[4:7], 0 offen lds                 // 000000003C94: E0511000 80010028
	v_mfma_i32_16x16x32_i8 v[90:93], a[34:35], a[138:139], v[90:93]// 000000003C9C: D3D7005A 1D6B1522
	ds_read_b128 a[88:91], v42 offset:2560                     // 000000003CA4: DBFE0A00 5800002A
	v_mfma_i32_16x16x32_i8 v[90:93], a[36:37], a[140:141], v[90:93]// 000000003CAC: D3D7005A 1D6B1924
	s_add_u32 m0, 0xb00, s55                                   // 000000003CB4: 807C37FF 00000B00
	buffer_load_dword v41, s[4:7], 0 offen lds                 // 000000003CBC: E0511000 80010029
	v_mfma_i32_16x16x32_i8 v[90:93], a[38:39], a[142:143], v[90:93]// 000000003CC4: D3D7005A 1D6B1D26
	ds_read_b128 a[92:95], v42 offset:2624                     // 000000003CCC: DBFE0A40 5C00002A
	v_mfma_i32_16x16x32_i8 v[94:97], a[40:41], a[136:137], v[94:97]// 000000003CD4: D3D7005E 1D7B1128
	v_mfma_i32_16x16x32_i8 v[94:97], a[42:43], a[138:139], v[94:97]// 000000003CDC: D3D7005E 1D7B152A
	s_add_u32 s47, 0x200, s39                                  // 000000003CE4: 802F27FF 00000200
	s_cmp_lt_u32 s47, s40                                      // 000000003CEC: BF0A282F
	s_cselect_b32 s51, s51, 0                                  // 000000003CF0: 85338033
	s_add_u32 s47, 0x180, s39                                  // 000000003CF4: 802F27FF 00000180
	s_cmp_lt_u32 s47, s40                                      // 000000003CFC: BF0A282F
	s_cselect_b32 s52, s52, 0                                  // 000000003D00: 85348034
	v_mfma_i32_16x16x32_i8 v[94:97], a[44:45], a[140:141], v[94:97]// 000000003D04: D3D7005E 1D7B192C
	v_mfma_i32_16x16x32_i8 v[94:97], a[46:47], a[142:143], v[94:97]// 000000003D0C: D3D7005E 1D7B1D2E
	s_add_u32 s4, s51, s4                                      // 000000003D14: 80040433
	s_addc_u32 s5, 0, s5                                       // 000000003D18: 82050580
	s_sub_u32 s6, s6, s51                                      // 000000003D1C: 80863306
	s_add_u32 s8, s52, s8                                      // 000000003D20: 80080834
	s_addc_u32 s9, 0, s9                                       // 000000003D24: 82090980
	s_sub_u32 s10, s10, s52                                    // 000000003D28: 808A340A
	s_addk_i32 s39, 0x80                                       // 000000003D2C: B7270080
	s_cmp_lt_i32 s39, s40                                      // 000000003D30: BF042827
	s_cbranch_scc0 label_074F                                  // 000000003D34: BF840001
	s_branch label_02C2                                        // 000000003D38: BF82FB73

0000000000003d3c <label_074F>:
	s_cmp_eq_u32 s38, 1                                        // 000000003D3C: BF068126
	s_cbranch_scc1 label_0957                                  // 000000003D40: BF850206
	v_cvt_f32_i32_e32 v50, v50                                 // 000000003D44: 7E640B32
	v_cvt_f32_i32_e32 v51, v51                                 // 000000003D48: 7E660B33
	v_pk_mul_f32 v[50:51], v[50:51], v[134:135]                // 000000003D4C: D3B14032 18030D32
	v_fma_f32 v50, v50, v122, v148                             // 000000003D54: D1CB0032 0652F532
	v_fma_f32 v51, v51, v122, v149                             // 000000003D5C: D1CB0033 0656F533
	v_perm_b32 v98, v51, v50, s45                              // 000000003D64: D1ED0062 00B66533
	v_cvt_f32_i32_e32 v52, v52                                 // 000000003D6C: 7E680B34
	v_cvt_f32_i32_e32 v53, v53                                 // 000000003D70: 7E6A0B35
	v_pk_mul_f32 v[52:53], v[52:53], v[136:137]                // 000000003D74: D3B14034 18031134
	v_fma_f32 v52, v52, v122, v150                             // 000000003D7C: D1CB0034 065AF534
	v_fma_f32 v53, v53, v122, v151                             // 000000003D84: D1CB0035 065EF535
	v_perm_b32 v99, v53, v52, s45                              // 000000003D8C: D1ED0063 00B66935
	v_cvt_f32_i32_e32 v54, v54                                 // 000000003D94: 7E6C0B36
	v_cvt_f32_i32_e32 v55, v55                                 // 000000003D98: 7E6E0B37
	v_pk_mul_f32 v[54:55], v[54:55], v[138:139]                // 000000003D9C: D3B14036 18031536
	v_fma_f32 v54, v54, v122, v152                             // 000000003DA4: D1CB0036 0662F536
	v_fma_f32 v55, v55, v122, v153                             // 000000003DAC: D1CB0037 0666F537
	v_perm_b32 v100, v55, v54, s45                             // 000000003DB4: D1ED0064 00B66D37
	v_cvt_f32_i32_e32 v56, v56                                 // 000000003DBC: 7E700B38
	v_cvt_f32_i32_e32 v57, v57                                 // 000000003DC0: 7E720B39
	v_pk_mul_f32 v[56:57], v[56:57], v[140:141]                // 000000003DC4: D3B14038 18031938
	v_fma_f32 v56, v56, v122, v154                             // 000000003DCC: D1CB0038 066AF538
	v_fma_f32 v57, v57, v122, v155                             // 000000003DD4: D1CB0039 066EF539
	v_perm_b32 v101, v57, v56, s45                             // 000000003DDC: D1ED0065 00B67139
	v_cvt_f32_i32_e32 v58, v58                                 // 000000003DE4: 7E740B3A
	v_cvt_f32_i32_e32 v59, v59                                 // 000000003DE8: 7E760B3B
	v_pk_mul_f32 v[58:59], v[58:59], v[134:135]                // 000000003DEC: D3B1403A 18030D3A
	v_fma_f32 v58, v58, v123, v148                             // 000000003DF4: D1CB003A 0652F73A
	v_fma_f32 v59, v59, v123, v149                             // 000000003DFC: D1CB003B 0656F73B
	v_perm_b32 v102, v59, v58, s45                             // 000000003E04: D1ED0066 00B6753B
	v_cvt_f32_i32_e32 v60, v60                                 // 000000003E0C: 7E780B3C
	v_cvt_f32_i32_e32 v61, v61                                 // 000000003E10: 7E7A0B3D
	v_pk_mul_f32 v[60:61], v[60:61], v[136:137]                // 000000003E14: D3B1403C 1803113C
	v_fma_f32 v60, v60, v123, v150                             // 000000003E1C: D1CB003C 065AF73C
	v_fma_f32 v61, v61, v123, v151                             // 000000003E24: D1CB003D 065EF73D
	v_perm_b32 v103, v61, v60, s45                             // 000000003E2C: D1ED0067 00B6793D
	v_cvt_f32_i32_e32 v62, v62                                 // 000000003E34: 7E7C0B3E
	v_cvt_f32_i32_e32 v63, v63                                 // 000000003E38: 7E7E0B3F
	v_pk_mul_f32 v[62:63], v[62:63], v[138:139]                // 000000003E3C: D3B1403E 1803153E
	v_fma_f32 v62, v62, v123, v152                             // 000000003E44: D1CB003E 0662F73E
	v_fma_f32 v63, v63, v123, v153                             // 000000003E4C: D1CB003F 0666F73F
	v_perm_b32 v104, v63, v62, s45                             // 000000003E54: D1ED0068 00B67D3F
	v_cvt_f32_i32_e32 v64, v64                                 // 000000003E5C: 7E800B40
	v_cvt_f32_i32_e32 v65, v65                                 // 000000003E60: 7E820B41
	v_pk_mul_f32 v[64:65], v[64:65], v[140:141]                // 000000003E64: D3B14040 18031940
	v_fma_f32 v64, v64, v123, v154                             // 000000003E6C: D1CB0040 066AF740
	v_fma_f32 v65, v65, v123, v155                             // 000000003E74: D1CB0041 066EF741
	v_perm_b32 v105, v65, v64, s45                             // 000000003E7C: D1ED0069 00B68141
	v_cvt_f32_i32_e32 v66, v66                                 // 000000003E84: 7E840B42
	v_cvt_f32_i32_e32 v67, v67                                 // 000000003E88: 7E860B43
	v_pk_mul_f32 v[66:67], v[66:67], v[134:135]                // 000000003E8C: D3B14042 18030D42
	v_fma_f32 v66, v66, v124, v148                             // 000000003E94: D1CB0042 0652F942
	v_fma_f32 v67, v67, v124, v149                             // 000000003E9C: D1CB0043 0656F943
	v_perm_b32 v106, v67, v66, s45                             // 000000003EA4: D1ED006A 00B68543
	v_cvt_f32_i32_e32 v68, v68                                 // 000000003EAC: 7E880B44
	v_cvt_f32_i32_e32 v69, v69                                 // 000000003EB0: 7E8A0B45
	v_pk_mul_f32 v[68:69], v[68:69], v[136:137]                // 000000003EB4: D3B14044 18031144
	v_fma_f32 v68, v68, v124, v150                             // 000000003EBC: D1CB0044 065AF944
	v_fma_f32 v69, v69, v124, v151                             // 000000003EC4: D1CB0045 065EF945
	v_perm_b32 v107, v69, v68, s45                             // 000000003ECC: D1ED006B 00B68945
	v_cvt_f32_i32_e32 v70, v70                                 // 000000003ED4: 7E8C0B46
	v_cvt_f32_i32_e32 v71, v71                                 // 000000003ED8: 7E8E0B47
	v_pk_mul_f32 v[70:71], v[70:71], v[138:139]                // 000000003EDC: D3B14046 18031546
	v_fma_f32 v70, v70, v124, v152                             // 000000003EE4: D1CB0046 0662F946
	v_fma_f32 v71, v71, v124, v153                             // 000000003EEC: D1CB0047 0666F947
	v_perm_b32 v108, v71, v70, s45                             // 000000003EF4: D1ED006C 00B68D47
	v_cvt_f32_i32_e32 v72, v72                                 // 000000003EFC: 7E900B48
	v_cvt_f32_i32_e32 v73, v73                                 // 000000003F00: 7E920B49
	v_pk_mul_f32 v[72:73], v[72:73], v[140:141]                // 000000003F04: D3B14048 18031948
	v_fma_f32 v72, v72, v124, v154                             // 000000003F0C: D1CB0048 066AF948
	v_fma_f32 v73, v73, v124, v155                             // 000000003F14: D1CB0049 066EF949
	v_perm_b32 v109, v73, v72, s45                             // 000000003F1C: D1ED006D 00B69149
	v_cvt_f32_i32_e32 v74, v74                                 // 000000003F24: 7E940B4A
	v_cvt_f32_i32_e32 v75, v75                                 // 000000003F28: 7E960B4B
	v_pk_mul_f32 v[74:75], v[74:75], v[134:135]                // 000000003F2C: D3B1404A 18030D4A
	v_fma_f32 v74, v74, v125, v148                             // 000000003F34: D1CB004A 0652FB4A
	v_fma_f32 v75, v75, v125, v149                             // 000000003F3C: D1CB004B 0656FB4B
	v_perm_b32 v110, v75, v74, s45                             // 000000003F44: D1ED006E 00B6954B
	v_cvt_f32_i32_e32 v76, v76                                 // 000000003F4C: 7E980B4C
	v_cvt_f32_i32_e32 v77, v77                                 // 000000003F50: 7E9A0B4D
	v_pk_mul_f32 v[76:77], v[76:77], v[136:137]                // 000000003F54: D3B1404C 1803114C
	v_fma_f32 v76, v76, v125, v150                             // 000000003F5C: D1CB004C 065AFB4C
	v_fma_f32 v77, v77, v125, v151                             // 000000003F64: D1CB004D 065EFB4D
	v_perm_b32 v111, v77, v76, s45                             // 000000003F6C: D1ED006F 00B6994D
	v_cvt_f32_i32_e32 v78, v78                                 // 000000003F74: 7E9C0B4E
	v_cvt_f32_i32_e32 v79, v79                                 // 000000003F78: 7E9E0B4F
	v_pk_mul_f32 v[78:79], v[78:79], v[138:139]                // 000000003F7C: D3B1404E 1803154E
	v_fma_f32 v78, v78, v125, v152                             // 000000003F84: D1CB004E 0662FB4E
	v_fma_f32 v79, v79, v125, v153                             // 000000003F8C: D1CB004F 0666FB4F
	v_perm_b32 v112, v79, v78, s45                             // 000000003F94: D1ED0070 00B69D4F
	v_cvt_f32_i32_e32 v80, v80                                 // 000000003F9C: 7EA00B50
	v_cvt_f32_i32_e32 v81, v81                                 // 000000003FA0: 7EA20B51
	v_pk_mul_f32 v[80:81], v[80:81], v[140:141]                // 000000003FA4: D3B14050 18031950
	v_fma_f32 v80, v80, v125, v154                             // 000000003FAC: D1CB0050 066AFB50
	v_fma_f32 v81, v81, v125, v155                             // 000000003FB4: D1CB0051 066EFB51
	v_perm_b32 v113, v81, v80, s45                             // 000000003FBC: D1ED0071 00B6A151
	v_cvt_f32_i32_e32 v82, v82                                 // 000000003FC4: 7EA40B52
	v_cvt_f32_i32_e32 v83, v83                                 // 000000003FC8: 7EA60B53
	v_pk_mul_f32 v[82:83], v[82:83], v[134:135]                // 000000003FCC: D3B14052 18030D52
	v_fma_f32 v82, v82, v126, v148                             // 000000003FD4: D1CB0052 0652FD52
	v_fma_f32 v83, v83, v126, v149                             // 000000003FDC: D1CB0053 0656FD53
	v_perm_b32 v114, v83, v82, s45                             // 000000003FE4: D1ED0072 00B6A553
	v_cvt_f32_i32_e32 v84, v84                                 // 000000003FEC: 7EA80B54
	v_cvt_f32_i32_e32 v85, v85                                 // 000000003FF0: 7EAA0B55
	v_pk_mul_f32 v[84:85], v[84:85], v[136:137]                // 000000003FF4: D3B14054 18031154
	v_fma_f32 v84, v84, v126, v150                             // 000000003FFC: D1CB0054 065AFD54
	v_fma_f32 v85, v85, v126, v151                             // 000000004004: D1CB0055 065EFD55
	v_perm_b32 v115, v85, v84, s45                             // 00000000400C: D1ED0073 00B6A955
	v_cvt_f32_i32_e32 v86, v86                                 // 000000004014: 7EAC0B56
	v_cvt_f32_i32_e32 v87, v87                                 // 000000004018: 7EAE0B57
	v_pk_mul_f32 v[86:87], v[86:87], v[138:139]                // 00000000401C: D3B14056 18031556
	v_fma_f32 v86, v86, v126, v152                             // 000000004024: D1CB0056 0662FD56
	v_fma_f32 v87, v87, v126, v153                             // 00000000402C: D1CB0057 0666FD57
	v_perm_b32 v116, v87, v86, s45                             // 000000004034: D1ED0074 00B6AD57
	v_cvt_f32_i32_e32 v88, v88                                 // 00000000403C: 7EB00B58
	v_cvt_f32_i32_e32 v89, v89                                 // 000000004040: 7EB20B59
	v_pk_mul_f32 v[88:89], v[88:89], v[140:141]                // 000000004044: D3B14058 18031958
	v_fma_f32 v88, v88, v126, v154                             // 00000000404C: D1CB0058 066AFD58
	v_fma_f32 v89, v89, v126, v155                             // 000000004054: D1CB0059 066EFD59
	v_perm_b32 v117, v89, v88, s45                             // 00000000405C: D1ED0075 00B6B159
	v_cvt_f32_i32_e32 v90, v90                                 // 000000004064: 7EB40B5A
	v_cvt_f32_i32_e32 v91, v91                                 // 000000004068: 7EB60B5B
	v_pk_mul_f32 v[90:91], v[90:91], v[134:135]                // 00000000406C: D3B1405A 18030D5A
	v_fma_f32 v90, v90, v127, v148                             // 000000004074: D1CB005A 0652FF5A
	v_fma_f32 v91, v91, v127, v149                             // 00000000407C: D1CB005B 0656FF5B
	v_perm_b32 v118, v91, v90, s45                             // 000000004084: D1ED0076 00B6B55B
	v_cvt_f32_i32_e32 v92, v92                                 // 00000000408C: 7EB80B5C
	v_cvt_f32_i32_e32 v93, v93                                 // 000000004090: 7EBA0B5D
	v_pk_mul_f32 v[92:93], v[92:93], v[136:137]                // 000000004094: D3B1405C 1803115C
	v_fma_f32 v92, v92, v127, v150                             // 00000000409C: D1CB005C 065AFF5C
	v_fma_f32 v93, v93, v127, v151                             // 0000000040A4: D1CB005D 065EFF5D
	v_perm_b32 v119, v93, v92, s45                             // 0000000040AC: D1ED0077 00B6B95D
	v_cvt_f32_i32_e32 v94, v94                                 // 0000000040B4: 7EBC0B5E
	v_cvt_f32_i32_e32 v95, v95                                 // 0000000040B8: 7EBE0B5F
	v_pk_mul_f32 v[94:95], v[94:95], v[138:139]                // 0000000040BC: D3B1405E 1803155E
	v_fma_f32 v94, v94, v127, v152                             // 0000000040C4: D1CB005E 0662FF5E
	v_fma_f32 v95, v95, v127, v153                             // 0000000040CC: D1CB005F 0666FF5F
	v_perm_b32 v120, v95, v94, s45                             // 0000000040D4: D1ED0078 00B6BD5F
	v_cvt_f32_i32_e32 v96, v96                                 // 0000000040DC: 7EC00B60
	v_cvt_f32_i32_e32 v97, v97                                 // 0000000040E0: 7EC20B61
	v_pk_mul_f32 v[96:97], v[96:97], v[140:141]                // 0000000040E4: D3B14060 18031960
	v_fma_f32 v96, v96, v127, v154                             // 0000000040EC: D1CB0060 066AFF60
	v_fma_f32 v97, v97, v127, v155                             // 0000000040F4: D1CB0061 066EFF61
	v_perm_b32 v121, v97, v96, s45                             // 0000000040FC: D1ED0079 00B6C161
	v_lshrrev_b32_e32 v4, 4, v0                                // 000000004104: 20080084
	v_mul_u32_u24_e32 v42, 34, v4                              // 000000004108: 105408A2
	v_and_b32_e32 v4, 15, v0                                   // 00000000410C: 2608008F
	v_mul_lo_u32 v5, 2, v4                                     // 000000004110: D2850005 00020882
	v_add_u32_e32 v42, v5, v42                                 // 000000004118: 68545505
	s_mul_i32 s47, s44, 0x110                                  // 00000000411C: 922FFF2C 00000110
	v_add_u32_e32 v42, s47, v42                                // 000000004124: 6854542F
	v_lshlrev_b32_e32 v42, 2, v42                              // 000000004128: 24545482
	v_lshrrev_b32_e32 v4, 1, v0                                // 00000000412C: 20080081
	v_mul_u32_u24_e32 v48, 34, v4                              // 000000004130: 106008A2
	v_and_b32_e32 v5, 1, v0                                    // 000000004134: 260A0081
	v_add_u32_e32 v48, v5, v48                                 // 000000004138: 68606105
	s_mul_i32 s47, s44, 2                                      // 00000000413C: 922F822C
	v_add_u32_e32 v48, s47, v48                                // 000000004140: 6860602F
	v_lshlrev_b32_e32 v48, 2, v48                              // 000000004144: 24606082
	s_waitcnt vmcnt(0) expcnt(0) lgkmcnt(0)                    // 000000004148: BF8C0000
	s_barrier                                                  // 00000000414C: BF8A0000
	ds_write_b64 v42, v[98:99]                                 // 000000004150: D89A0000 0000622A
	ds_write_b64 v42, v[100:101] offset:544                    // 000000004158: D89A0220 0000642A
	ds_write_b64 v42, v[102:103] offset:4352                   // 000000004160: D89A1100 0000662A
	ds_write_b64 v42, v[104:105] offset:4896                   // 000000004168: D89A1320 0000682A
	ds_write_b64 v42, v[106:107] offset:8704                   // 000000004170: D89A2200 00006A2A
	ds_write_b64 v42, v[108:109] offset:9248                   // 000000004178: D89A2420 00006C2A
	ds_write_b64 v42, v[110:111] offset:13056                  // 000000004180: D89A3300 00006E2A
	ds_write_b64 v42, v[112:113] offset:13600                  // 000000004188: D89A3520 0000702A
	ds_write_b64 v42, v[114:115] offset:17408                  // 000000004190: D89A4400 0000722A
	ds_write_b64 v42, v[116:117] offset:17952                  // 000000004198: D89A4620 0000742A
	ds_write_b64 v42, v[118:119] offset:21760                  // 0000000041A0: D89A5500 0000762A
	ds_write_b64 v42, v[120:121] offset:22304                  // 0000000041A8: D89A5720 0000782A
	s_waitcnt lgkmcnt(0)                                       // 0000000041B0: BF8CC07F
	s_barrier                                                  // 0000000041B4: BF8A0000
	ds_read_b32 v98, v48                                       // 0000000041B8: D86C0000 62000030
	ds_read_b32 v99, v48 offset:32                             // 0000000041C0: D86C0020 63000030
	ds_read_b32 v100, v48 offset:64                            // 0000000041C8: D86C0040 64000030
	ds_read_b32 v101, v48 offset:96                            // 0000000041D0: D86C0060 65000030
	ds_read_b32 v102, v48 offset:4352                          // 0000000041D8: D86C1100 66000030
	ds_read_b32 v103, v48 offset:4384                          // 0000000041E0: D86C1120 67000030
	ds_read_b32 v104, v48 offset:4416                          // 0000000041E8: D86C1140 68000030
	ds_read_b32 v105, v48 offset:4448                          // 0000000041F0: D86C1160 69000030
	ds_read_b32 v106, v48 offset:8704                          // 0000000041F8: D86C2200 6A000030
	ds_read_b32 v107, v48 offset:8736                          // 000000004200: D86C2220 6B000030
	ds_read_b32 v108, v48 offset:8768                          // 000000004208: D86C2240 6C000030
	ds_read_b32 v109, v48 offset:8800                          // 000000004210: D86C2260 6D000030
	ds_read_b32 v110, v48 offset:13056                         // 000000004218: D86C3300 6E000030
	ds_read_b32 v111, v48 offset:13088                         // 000000004220: D86C3320 6F000030
	ds_read_b32 v112, v48 offset:13120                         // 000000004228: D86C3340 70000030
	ds_read_b32 v113, v48 offset:13152                         // 000000004230: D86C3360 71000030
	ds_read_b32 v114, v48 offset:17408                         // 000000004238: D86C4400 72000030
	ds_read_b32 v115, v48 offset:17440                         // 000000004240: D86C4420 73000030
	ds_read_b32 v116, v48 offset:17472                         // 000000004248: D86C4440 74000030
	ds_read_b32 v117, v48 offset:17504                         // 000000004250: D86C4460 75000030
	ds_read_b32 v118, v48 offset:21760                         // 000000004258: D86C5500 76000030
	ds_read_b32 v119, v48 offset:21792                         // 000000004260: D86C5520 77000030
	ds_read_b32 v120, v48 offset:21824                         // 000000004268: D86C5540 78000030
	ds_read_b32 v121, v48 offset:21856                         // 000000004270: D86C5560 79000030
	s_waitcnt lgkmcnt(0)                                       // 000000004278: BF8CC07F
	s_barrier                                                  // 00000000427C: BF8A0000
	s_mul_i32 s47, s37, 4                                      // 000000004280: 922F8425
	s_mul_i32 s48, s37, 8                                      // 000000004284: 92308825
	s_mul_i32 s49, s37, 16                                     // 000000004288: 92319025
	v_mov_b32_e32 v4, v22                                      // 00000000428C: 7E080316
	v_mov_b32_e32 v5, 0                                        // 000000004290: 7E0A0280
	v_mov_b32_e32 v7, 0                                        // 000000004294: 7E0E0280
	v_mov_b32_e32 v9, 0                                        // 000000004298: 7E120280
	v_mov_b32_e32 v11, 0                                       // 00000000429C: 7E160280
	v_mov_b32_e32 v6, v4                                       // 0000000042A0: 7E0C0304
	v_add_u32_e64 v10, v4, s48                                 // 0000000042A4: D134000A 00006104
	s_cmp_ge_u32 s77, s32                                      // 0000000042AC: BF09204D
	s_cbranch_scc1 label_0A5F                                  // 0000000042B0: BF8501B2
	global_atomic_pk_add_bf16 v6, v98, s[80:81]                // 0000000042B4: DD488000 00506206
	v_add_u32_e64 v8, v6, s47                                  // 0000000042BC: D1340008 00005F06
	s_add_i32 s77, s77, 4                                      // 0000000042C4: 814D844D
	s_cmp_ge_u32 s77, s32                                      // 0000000042C8: BF09204D
	s_cbranch_scc1 label_0A5F                                  // 0000000042CC: BF8501AB
	global_atomic_pk_add_bf16 v8, v99, s[80:81]                // 0000000042D0: DD488000 00506308
	s_add_i32 s77, s77, 4                                      // 0000000042D8: 814D844D
	s_cmp_ge_u32 s77, s32                                      // 0000000042DC: BF09204D
	s_cbranch_scc1 label_0A5F                                  // 0000000042E0: BF8501A6
	global_atomic_pk_add_bf16 v10, v100, s[80:81]              // 0000000042E4: DD488000 0050640A
	v_add_u32_e64 v12, v10, s47                                // 0000000042EC: D134000C 00005F0A
	s_add_i32 s77, s77, 4                                      // 0000000042F4: 814D844D
	s_cmp_ge_u32 s77, s32                                      // 0000000042F8: BF09204D
	s_cbranch_scc1 label_0A5F                                  // 0000000042FC: BF85019F
	global_atomic_pk_add_bf16 v12, v101, s[80:81]              // 000000004300: DD488000 0050650C
	s_add_i32 s77, s77, 4                                      // 000000004308: 814D844D
	v_add_u32_e64 v4, v4, s49                                  // 00000000430C: D1340004 00006304
	v_mov_b32_e32 v6, v4                                       // 000000004314: 7E0C0304
	v_add_u32_e64 v10, v4, s48                                 // 000000004318: D134000A 00006104
	s_cmp_ge_u32 s77, s32                                      // 000000004320: BF09204D
	s_cbranch_scc1 label_0A5F                                  // 000000004324: BF850195
	global_atomic_pk_add_bf16 v6, v102, s[80:81]               // 000000004328: DD488000 00506606
	v_add_u32_e64 v8, v6, s47                                  // 000000004330: D1340008 00005F06
	s_add_i32 s77, s77, 4                                      // 000000004338: 814D844D
	s_cmp_ge_u32 s77, s32                                      // 00000000433C: BF09204D
	s_cbranch_scc1 label_0A5F                                  // 000000004340: BF85018E
	global_atomic_pk_add_bf16 v8, v103, s[80:81]               // 000000004344: DD488000 00506708
	s_add_i32 s77, s77, 4                                      // 00000000434C: 814D844D
	s_cmp_ge_u32 s77, s32                                      // 000000004350: BF09204D
	s_cbranch_scc1 label_0A5F                                  // 000000004354: BF850189
	global_atomic_pk_add_bf16 v10, v104, s[80:81]              // 000000004358: DD488000 0050680A
	v_add_u32_e64 v12, v10, s47                                // 000000004360: D134000C 00005F0A
	s_add_i32 s77, s77, 4                                      // 000000004368: 814D844D
	s_cmp_ge_u32 s77, s32                                      // 00000000436C: BF09204D
	s_cbranch_scc1 label_0A5F                                  // 000000004370: BF850182
	global_atomic_pk_add_bf16 v12, v105, s[80:81]              // 000000004374: DD488000 0050690C
	s_add_i32 s77, s77, 4                                      // 00000000437C: 814D844D
	v_add_u32_e64 v4, v4, s49                                  // 000000004380: D1340004 00006304
	v_mov_b32_e32 v6, v4                                       // 000000004388: 7E0C0304
	v_add_u32_e64 v10, v4, s48                                 // 00000000438C: D134000A 00006104
	s_cmp_ge_u32 s77, s32                                      // 000000004394: BF09204D
	s_cbranch_scc1 label_0A5F                                  // 000000004398: BF850178
	global_atomic_pk_add_bf16 v6, v106, s[80:81]               // 00000000439C: DD488000 00506A06
	v_add_u32_e64 v8, v6, s47                                  // 0000000043A4: D1340008 00005F06
	s_add_i32 s77, s77, 4                                      // 0000000043AC: 814D844D
	s_cmp_ge_u32 s77, s32                                      // 0000000043B0: BF09204D
	s_cbranch_scc1 label_0A5F                                  // 0000000043B4: BF850171
	global_atomic_pk_add_bf16 v8, v107, s[80:81]               // 0000000043B8: DD488000 00506B08
	s_add_i32 s77, s77, 4                                      // 0000000043C0: 814D844D
	s_cmp_ge_u32 s77, s32                                      // 0000000043C4: BF09204D
	s_cbranch_scc1 label_0A5F                                  // 0000000043C8: BF85016C
	global_atomic_pk_add_bf16 v10, v108, s[80:81]              // 0000000043CC: DD488000 00506C0A
	v_add_u32_e64 v12, v10, s47                                // 0000000043D4: D134000C 00005F0A
	s_add_i32 s77, s77, 4                                      // 0000000043DC: 814D844D
	s_cmp_ge_u32 s77, s32                                      // 0000000043E0: BF09204D
	s_cbranch_scc1 label_0A5F                                  // 0000000043E4: BF850165
	global_atomic_pk_add_bf16 v12, v109, s[80:81]              // 0000000043E8: DD488000 00506D0C
	s_add_i32 s77, s77, 4                                      // 0000000043F0: 814D844D
	v_add_u32_e64 v4, v4, s49                                  // 0000000043F4: D1340004 00006304
	v_mov_b32_e32 v6, v4                                       // 0000000043FC: 7E0C0304
	v_add_u32_e64 v10, v4, s48                                 // 000000004400: D134000A 00006104
	s_cmp_ge_u32 s77, s32                                      // 000000004408: BF09204D
	s_cbranch_scc1 label_0A5F                                  // 00000000440C: BF85015B
	global_atomic_pk_add_bf16 v6, v110, s[80:81]               // 000000004410: DD488000 00506E06
	v_add_u32_e64 v8, v6, s47                                  // 000000004418: D1340008 00005F06
	s_add_i32 s77, s77, 4                                      // 000000004420: 814D844D
	s_cmp_ge_u32 s77, s32                                      // 000000004424: BF09204D
	s_cbranch_scc1 label_0A5F                                  // 000000004428: BF850154
	global_atomic_pk_add_bf16 v8, v111, s[80:81]               // 00000000442C: DD488000 00506F08
	s_add_i32 s77, s77, 4                                      // 000000004434: 814D844D
	s_cmp_ge_u32 s77, s32                                      // 000000004438: BF09204D
	s_cbranch_scc1 label_0A5F                                  // 00000000443C: BF85014F
	global_atomic_pk_add_bf16 v10, v112, s[80:81]              // 000000004440: DD488000 0050700A
	v_add_u32_e64 v12, v10, s47                                // 000000004448: D134000C 00005F0A
	s_add_i32 s77, s77, 4                                      // 000000004450: 814D844D
	s_cmp_ge_u32 s77, s32                                      // 000000004454: BF09204D
	s_cbranch_scc1 label_0A5F                                  // 000000004458: BF850148
	global_atomic_pk_add_bf16 v12, v113, s[80:81]              // 00000000445C: DD488000 0050710C
	s_add_i32 s77, s77, 4                                      // 000000004464: 814D844D
	v_add_u32_e64 v4, v4, s49                                  // 000000004468: D1340004 00006304
	v_mov_b32_e32 v6, v4                                       // 000000004470: 7E0C0304
	v_add_u32_e64 v10, v4, s48                                 // 000000004474: D134000A 00006104
	s_cmp_ge_u32 s77, s32                                      // 00000000447C: BF09204D
	s_cbranch_scc1 label_0A5F                                  // 000000004480: BF85013E
	global_atomic_pk_add_bf16 v6, v114, s[80:81]               // 000000004484: DD488000 00507206
	v_add_u32_e64 v8, v6, s47                                  // 00000000448C: D1340008 00005F06
	s_add_i32 s77, s77, 4                                      // 000000004494: 814D844D
	s_cmp_ge_u32 s77, s32                                      // 000000004498: BF09204D
	s_cbranch_scc1 label_0A5F                                  // 00000000449C: BF850137
	global_atomic_pk_add_bf16 v8, v115, s[80:81]               // 0000000044A0: DD488000 00507308
	s_add_i32 s77, s77, 4                                      // 0000000044A8: 814D844D
	s_cmp_ge_u32 s77, s32                                      // 0000000044AC: BF09204D
	s_cbranch_scc1 label_0A5F                                  // 0000000044B0: BF850132
	global_atomic_pk_add_bf16 v10, v116, s[80:81]              // 0000000044B4: DD488000 0050740A
	v_add_u32_e64 v12, v10, s47                                // 0000000044BC: D134000C 00005F0A
	s_add_i32 s77, s77, 4                                      // 0000000044C4: 814D844D
	s_cmp_ge_u32 s77, s32                                      // 0000000044C8: BF09204D
	s_cbranch_scc1 label_0A5F                                  // 0000000044CC: BF85012B
	global_atomic_pk_add_bf16 v12, v117, s[80:81]              // 0000000044D0: DD488000 0050750C
	s_add_i32 s77, s77, 4                                      // 0000000044D8: 814D844D
	v_add_u32_e64 v4, v4, s49                                  // 0000000044DC: D1340004 00006304
	v_mov_b32_e32 v6, v4                                       // 0000000044E4: 7E0C0304
	v_add_u32_e64 v10, v4, s48                                 // 0000000044E8: D134000A 00006104
	s_cmp_ge_u32 s77, s32                                      // 0000000044F0: BF09204D
	s_cbranch_scc1 label_0A5F                                  // 0000000044F4: BF850121
	global_atomic_pk_add_bf16 v6, v118, s[80:81]               // 0000000044F8: DD488000 00507606
	v_add_u32_e64 v8, v6, s47                                  // 000000004500: D1340008 00005F06
	s_add_i32 s77, s77, 4                                      // 000000004508: 814D844D
	s_cmp_ge_u32 s77, s32                                      // 00000000450C: BF09204D
	s_cbranch_scc1 label_0A5F                                  // 000000004510: BF85011A
	global_atomic_pk_add_bf16 v8, v119, s[80:81]               // 000000004514: DD488000 00507708
	s_add_i32 s77, s77, 4                                      // 00000000451C: 814D844D
	s_cmp_ge_u32 s77, s32                                      // 000000004520: BF09204D
	s_cbranch_scc1 label_0A5F                                  // 000000004524: BF850115
	global_atomic_pk_add_bf16 v10, v120, s[80:81]              // 000000004528: DD488000 0050780A
	v_add_u32_e64 v12, v10, s47                                // 000000004530: D134000C 00005F0A
	s_add_i32 s77, s77, 4                                      // 000000004538: 814D844D
	s_cmp_ge_u32 s77, s32                                      // 00000000453C: BF09204D
	s_cbranch_scc1 label_0A5F                                  // 000000004540: BF85010E
	global_atomic_pk_add_bf16 v12, v121, s[80:81]              // 000000004544: DD488000 0050790C
	s_add_i32 s77, s77, 4                                      // 00000000454C: 814D844D
	v_add_u32_e64 v4, v4, s49                                  // 000000004550: D1340004 00006304
	s_branch label_0A5F                                        // 000000004558: BF820108

000000000000455c <label_0957>:
	v_cvt_f32_i32_e32 v50, v50                                 // 00000000455C: 7E640B32
	v_cvt_f32_i32_e32 v51, v51                                 // 000000004560: 7E660B33
	v_pk_mul_f32 v[50:51], v[50:51], v[134:135]                // 000000004564: D3B14032 18030D32
	v_fma_f32 v50, v50, v122, v148                             // 00000000456C: D1CB0032 0652F532
	v_fma_f32 v51, v51, v122, v149                             // 000000004574: D1CB0033 0656F533
	v_perm_b32 v98, v51, v50, s45                              // 00000000457C: D1ED0062 00B66533
	v_cvt_f32_i32_e32 v52, v52                                 // 000000004584: 7E680B34
	v_cvt_f32_i32_e32 v53, v53                                 // 000000004588: 7E6A0B35
	v_pk_mul_f32 v[52:53], v[52:53], v[136:137]                // 00000000458C: D3B14034 18031134
	v_fma_f32 v52, v52, v122, v150                             // 000000004594: D1CB0034 065AF534
	v_fma_f32 v53, v53, v122, v151                             // 00000000459C: D1CB0035 065EF535
	v_perm_b32 v99, v53, v52, s45                              // 0000000045A4: D1ED0063 00B66935
	buffer_store_dwordx2 v[98:99], v16, s[16:19], 0 offen      // 0000000045AC: E0741000 80046210
	v_cvt_f32_i32_e32 v54, v54                                 // 0000000045B4: 7E6C0B36
	v_cvt_f32_i32_e32 v55, v55                                 // 0000000045B8: 7E6E0B37
	v_pk_mul_f32 v[54:55], v[54:55], v[138:139]                // 0000000045BC: D3B14036 18031536
	v_fma_f32 v54, v54, v122, v152                             // 0000000045C4: D1CB0036 0662F536
	v_fma_f32 v55, v55, v122, v153                             // 0000000045CC: D1CB0037 0666F537
	v_perm_b32 v100, v55, v54, s45                             // 0000000045D4: D1ED0064 00B66D37
	v_cvt_f32_i32_e32 v56, v56                                 // 0000000045DC: 7E700B38
	v_cvt_f32_i32_e32 v57, v57                                 // 0000000045E0: 7E720B39
	v_pk_mul_f32 v[56:57], v[56:57], v[140:141]                // 0000000045E4: D3B14038 18031938
	v_fma_f32 v56, v56, v122, v154                             // 0000000045EC: D1CB0038 066AF538
	v_fma_f32 v57, v57, v122, v155                             // 0000000045F4: D1CB0039 066EF539
	v_perm_b32 v101, v57, v56, s45                             // 0000000045FC: D1ED0065 00B67139
	buffer_store_dwordx2 v[100:101], v16, s[16:19], 0 offen offset:32// 000000004604: E0741020 80046410
	v_cvt_f32_i32_e32 v58, v58                                 // 00000000460C: 7E740B3A
	v_cvt_f32_i32_e32 v59, v59                                 // 000000004610: 7E760B3B
	v_pk_mul_f32 v[58:59], v[58:59], v[134:135]                // 000000004614: D3B1403A 18030D3A
	v_fma_f32 v58, v58, v123, v148                             // 00000000461C: D1CB003A 0652F73A
	v_fma_f32 v59, v59, v123, v149                             // 000000004624: D1CB003B 0656F73B
	v_perm_b32 v102, v59, v58, s45                             // 00000000462C: D1ED0066 00B6753B
	v_cvt_f32_i32_e32 v60, v60                                 // 000000004634: 7E780B3C
	v_cvt_f32_i32_e32 v61, v61                                 // 000000004638: 7E7A0B3D
	v_pk_mul_f32 v[60:61], v[60:61], v[136:137]                // 00000000463C: D3B1403C 1803113C
	v_fma_f32 v60, v60, v123, v150                             // 000000004644: D1CB003C 065AF73C
	v_fma_f32 v61, v61, v123, v151                             // 00000000464C: D1CB003D 065EF73D
	v_perm_b32 v103, v61, v60, s45                             // 000000004654: D1ED0067 00B6793D
	buffer_store_dwordx2 v[102:103], v17, s[16:19], 0 offen    // 00000000465C: E0741000 80046611
	v_cvt_f32_i32_e32 v62, v62                                 // 000000004664: 7E7C0B3E
	v_cvt_f32_i32_e32 v63, v63                                 // 000000004668: 7E7E0B3F
	v_pk_mul_f32 v[62:63], v[62:63], v[138:139]                // 00000000466C: D3B1403E 1803153E
	v_fma_f32 v62, v62, v123, v152                             // 000000004674: D1CB003E 0662F73E
	v_fma_f32 v63, v63, v123, v153                             // 00000000467C: D1CB003F 0666F73F
	v_perm_b32 v104, v63, v62, s45                             // 000000004684: D1ED0068 00B67D3F
	v_cvt_f32_i32_e32 v64, v64                                 // 00000000468C: 7E800B40
	v_cvt_f32_i32_e32 v65, v65                                 // 000000004690: 7E820B41
	v_pk_mul_f32 v[64:65], v[64:65], v[140:141]                // 000000004694: D3B14040 18031940
	v_fma_f32 v64, v64, v123, v154                             // 00000000469C: D1CB0040 066AF740
	v_fma_f32 v65, v65, v123, v155                             // 0000000046A4: D1CB0041 066EF741
	v_perm_b32 v105, v65, v64, s45                             // 0000000046AC: D1ED0069 00B68141
	buffer_store_dwordx2 v[104:105], v17, s[16:19], 0 offen offset:32// 0000000046B4: E0741020 80046811
	v_cvt_f32_i32_e32 v66, v66                                 // 0000000046BC: 7E840B42
	v_cvt_f32_i32_e32 v67, v67                                 // 0000000046C0: 7E860B43
	v_pk_mul_f32 v[66:67], v[66:67], v[134:135]                // 0000000046C4: D3B14042 18030D42
	v_fma_f32 v66, v66, v124, v148                             // 0000000046CC: D1CB0042 0652F942
	v_fma_f32 v67, v67, v124, v149                             // 0000000046D4: D1CB0043 0656F943
	v_perm_b32 v106, v67, v66, s45                             // 0000000046DC: D1ED006A 00B68543
	v_cvt_f32_i32_e32 v68, v68                                 // 0000000046E4: 7E880B44
	v_cvt_f32_i32_e32 v69, v69                                 // 0000000046E8: 7E8A0B45
	v_pk_mul_f32 v[68:69], v[68:69], v[136:137]                // 0000000046EC: D3B14044 18031144
	v_fma_f32 v68, v68, v124, v150                             // 0000000046F4: D1CB0044 065AF944
	v_fma_f32 v69, v69, v124, v151                             // 0000000046FC: D1CB0045 065EF945
	v_perm_b32 v107, v69, v68, s45                             // 000000004704: D1ED006B 00B68945
	buffer_store_dwordx2 v[106:107], v18, s[16:19], 0 offen    // 00000000470C: E0741000 80046A12
	v_cvt_f32_i32_e32 v70, v70                                 // 000000004714: 7E8C0B46
	v_cvt_f32_i32_e32 v71, v71                                 // 000000004718: 7E8E0B47
	v_pk_mul_f32 v[70:71], v[70:71], v[138:139]                // 00000000471C: D3B14046 18031546
	v_fma_f32 v70, v70, v124, v152                             // 000000004724: D1CB0046 0662F946
	v_fma_f32 v71, v71, v124, v153                             // 00000000472C: D1CB0047 0666F947
	v_perm_b32 v108, v71, v70, s45                             // 000000004734: D1ED006C 00B68D47
	v_cvt_f32_i32_e32 v72, v72                                 // 00000000473C: 7E900B48
	v_cvt_f32_i32_e32 v73, v73                                 // 000000004740: 7E920B49
	v_pk_mul_f32 v[72:73], v[72:73], v[140:141]                // 000000004744: D3B14048 18031948
	v_fma_f32 v72, v72, v124, v154                             // 00000000474C: D1CB0048 066AF948
	v_fma_f32 v73, v73, v124, v155                             // 000000004754: D1CB0049 066EF949
	v_perm_b32 v109, v73, v72, s45                             // 00000000475C: D1ED006D 00B69149
	buffer_store_dwordx2 v[108:109], v18, s[16:19], 0 offen offset:32// 000000004764: E0741020 80046C12
	v_cvt_f32_i32_e32 v74, v74                                 // 00000000476C: 7E940B4A
	v_cvt_f32_i32_e32 v75, v75                                 // 000000004770: 7E960B4B
	v_pk_mul_f32 v[74:75], v[74:75], v[134:135]                // 000000004774: D3B1404A 18030D4A
	v_fma_f32 v74, v74, v125, v148                             // 00000000477C: D1CB004A 0652FB4A
	v_fma_f32 v75, v75, v125, v149                             // 000000004784: D1CB004B 0656FB4B
	v_perm_b32 v110, v75, v74, s45                             // 00000000478C: D1ED006E 00B6954B
	v_cvt_f32_i32_e32 v76, v76                                 // 000000004794: 7E980B4C
	v_cvt_f32_i32_e32 v77, v77                                 // 000000004798: 7E9A0B4D
	v_pk_mul_f32 v[76:77], v[76:77], v[136:137]                // 00000000479C: D3B1404C 1803114C
	v_fma_f32 v76, v76, v125, v150                             // 0000000047A4: D1CB004C 065AFB4C
	v_fma_f32 v77, v77, v125, v151                             // 0000000047AC: D1CB004D 065EFB4D
	v_perm_b32 v111, v77, v76, s45                             // 0000000047B4: D1ED006F 00B6994D
	buffer_store_dwordx2 v[110:111], v19, s[16:19], 0 offen    // 0000000047BC: E0741000 80046E13
	v_cvt_f32_i32_e32 v78, v78                                 // 0000000047C4: 7E9C0B4E
	v_cvt_f32_i32_e32 v79, v79                                 // 0000000047C8: 7E9E0B4F
	v_pk_mul_f32 v[78:79], v[78:79], v[138:139]                // 0000000047CC: D3B1404E 1803154E
	v_fma_f32 v78, v78, v125, v152                             // 0000000047D4: D1CB004E 0662FB4E
	v_fma_f32 v79, v79, v125, v153                             // 0000000047DC: D1CB004F 0666FB4F
	v_perm_b32 v112, v79, v78, s45                             // 0000000047E4: D1ED0070 00B69D4F
	v_cvt_f32_i32_e32 v80, v80                                 // 0000000047EC: 7EA00B50
	v_cvt_f32_i32_e32 v81, v81                                 // 0000000047F0: 7EA20B51
	v_pk_mul_f32 v[80:81], v[80:81], v[140:141]                // 0000000047F4: D3B14050 18031950
	v_fma_f32 v80, v80, v125, v154                             // 0000000047FC: D1CB0050 066AFB50
	v_fma_f32 v81, v81, v125, v155                             // 000000004804: D1CB0051 066EFB51
	v_perm_b32 v113, v81, v80, s45                             // 00000000480C: D1ED0071 00B6A151
	buffer_store_dwordx2 v[112:113], v19, s[16:19], 0 offen offset:32// 000000004814: E0741020 80047013
	v_cvt_f32_i32_e32 v82, v82                                 // 00000000481C: 7EA40B52
	v_cvt_f32_i32_e32 v83, v83                                 // 000000004820: 7EA60B53
	v_pk_mul_f32 v[82:83], v[82:83], v[134:135]                // 000000004824: D3B14052 18030D52
	v_fma_f32 v82, v82, v126, v148                             // 00000000482C: D1CB0052 0652FD52
	v_fma_f32 v83, v83, v126, v149                             // 000000004834: D1CB0053 0656FD53
	v_perm_b32 v114, v83, v82, s45                             // 00000000483C: D1ED0072 00B6A553
	v_cvt_f32_i32_e32 v84, v84                                 // 000000004844: 7EA80B54
	v_cvt_f32_i32_e32 v85, v85                                 // 000000004848: 7EAA0B55
	v_pk_mul_f32 v[84:85], v[84:85], v[136:137]                // 00000000484C: D3B14054 18031154
	v_fma_f32 v84, v84, v126, v150                             // 000000004854: D1CB0054 065AFD54
	v_fma_f32 v85, v85, v126, v151                             // 00000000485C: D1CB0055 065EFD55
	v_perm_b32 v115, v85, v84, s45                             // 000000004864: D1ED0073 00B6A955
	buffer_store_dwordx2 v[114:115], v20, s[16:19], 0 offen    // 00000000486C: E0741000 80047214
	v_cvt_f32_i32_e32 v86, v86                                 // 000000004874: 7EAC0B56
	v_cvt_f32_i32_e32 v87, v87                                 // 000000004878: 7EAE0B57
	v_pk_mul_f32 v[86:87], v[86:87], v[138:139]                // 00000000487C: D3B14056 18031556
	v_fma_f32 v86, v86, v126, v152                             // 000000004884: D1CB0056 0662FD56
	v_fma_f32 v87, v87, v126, v153                             // 00000000488C: D1CB0057 0666FD57
	v_perm_b32 v116, v87, v86, s45                             // 000000004894: D1ED0074 00B6AD57
	v_cvt_f32_i32_e32 v88, v88                                 // 00000000489C: 7EB00B58
	v_cvt_f32_i32_e32 v89, v89                                 // 0000000048A0: 7EB20B59
	v_pk_mul_f32 v[88:89], v[88:89], v[140:141]                // 0000000048A4: D3B14058 18031958
	v_fma_f32 v88, v88, v126, v154                             // 0000000048AC: D1CB0058 066AFD58
	v_fma_f32 v89, v89, v126, v155                             // 0000000048B4: D1CB0059 066EFD59
	v_perm_b32 v117, v89, v88, s45                             // 0000000048BC: D1ED0075 00B6B159
	buffer_store_dwordx2 v[116:117], v20, s[16:19], 0 offen offset:32// 0000000048C4: E0741020 80047414
	v_cvt_f32_i32_e32 v90, v90                                 // 0000000048CC: 7EB40B5A
	v_cvt_f32_i32_e32 v91, v91                                 // 0000000048D0: 7EB60B5B
	v_pk_mul_f32 v[90:91], v[90:91], v[134:135]                // 0000000048D4: D3B1405A 18030D5A
	v_fma_f32 v90, v90, v127, v148                             // 0000000048DC: D1CB005A 0652FF5A
	v_fma_f32 v91, v91, v127, v149                             // 0000000048E4: D1CB005B 0656FF5B
	v_perm_b32 v118, v91, v90, s45                             // 0000000048EC: D1ED0076 00B6B55B
	v_cvt_f32_i32_e32 v92, v92                                 // 0000000048F4: 7EB80B5C
	v_cvt_f32_i32_e32 v93, v93                                 // 0000000048F8: 7EBA0B5D
	v_pk_mul_f32 v[92:93], v[92:93], v[136:137]                // 0000000048FC: D3B1405C 1803115C
	v_fma_f32 v92, v92, v127, v150                             // 000000004904: D1CB005C 065AFF5C
	v_fma_f32 v93, v93, v127, v151                             // 00000000490C: D1CB005D 065EFF5D
	v_perm_b32 v119, v93, v92, s45                             // 000000004914: D1ED0077 00B6B95D
	buffer_store_dwordx2 v[118:119], v21, s[16:19], 0 offen    // 00000000491C: E0741000 80047615
	v_cvt_f32_i32_e32 v94, v94                                 // 000000004924: 7EBC0B5E
	v_cvt_f32_i32_e32 v95, v95                                 // 000000004928: 7EBE0B5F
	v_pk_mul_f32 v[94:95], v[94:95], v[138:139]                // 00000000492C: D3B1405E 1803155E
	v_fma_f32 v94, v94, v127, v152                             // 000000004934: D1CB005E 0662FF5E
	v_fma_f32 v95, v95, v127, v153                             // 00000000493C: D1CB005F 0666FF5F
	v_perm_b32 v120, v95, v94, s45                             // 000000004944: D1ED0078 00B6BD5F
	v_cvt_f32_i32_e32 v96, v96                                 // 00000000494C: 7EC00B60
	v_cvt_f32_i32_e32 v97, v97                                 // 000000004950: 7EC20B61
	v_pk_mul_f32 v[96:97], v[96:97], v[140:141]                // 000000004954: D3B14060 18031960
	v_fma_f32 v96, v96, v127, v154                             // 00000000495C: D1CB0060 066AFF60
	v_fma_f32 v97, v97, v127, v155                             // 000000004964: D1CB0061 066EFF61
	v_perm_b32 v121, v97, v96, s45                             // 00000000496C: D1ED0079 00B6C161
	buffer_store_dwordx2 v[120:121], v21, s[16:19], 0 offen offset:32// 000000004974: E0741020 80047815

000000000000497c <label_0A5F>:
	s_waitcnt vmcnt(0) expcnt(0) lgkmcnt(0)                    // 00000000497C: BF8C0000
	s_endpgm                                                   // 000000004980: BF810000
